;; amdgpu-corpus repo=ROCm/rocFFT kind=compiled arch=gfx1201 opt=O3
	.text
	.amdgcn_target "amdgcn-amd-amdhsa--gfx1201"
	.amdhsa_code_object_version 6
	.protected	fft_rtc_fwd_len3600_factors_10_10_6_6_wgs_120_tpt_120_halfLds_dp_op_CI_CI_unitstride_sbrr_R2C_dirReg ; -- Begin function fft_rtc_fwd_len3600_factors_10_10_6_6_wgs_120_tpt_120_halfLds_dp_op_CI_CI_unitstride_sbrr_R2C_dirReg
	.globl	fft_rtc_fwd_len3600_factors_10_10_6_6_wgs_120_tpt_120_halfLds_dp_op_CI_CI_unitstride_sbrr_R2C_dirReg
	.p2align	8
	.type	fft_rtc_fwd_len3600_factors_10_10_6_6_wgs_120_tpt_120_halfLds_dp_op_CI_CI_unitstride_sbrr_R2C_dirReg,@function
fft_rtc_fwd_len3600_factors_10_10_6_6_wgs_120_tpt_120_halfLds_dp_op_CI_CI_unitstride_sbrr_R2C_dirReg: ; @fft_rtc_fwd_len3600_factors_10_10_6_6_wgs_120_tpt_120_halfLds_dp_op_CI_CI_unitstride_sbrr_R2C_dirReg
; %bb.0:
	s_clause 0x2
	s_load_b128 s[8:11], s[0:1], 0x0
	s_load_b128 s[4:7], s[0:1], 0x58
	;; [unrolled: 1-line block ×3, first 2 shown]
	v_mul_u32_u24_e32 v1, 0x223, v0
	v_mov_b32_e32 v3, 0
	s_delay_alu instid0(VALU_DEP_2) | instskip(NEXT) | instid1(VALU_DEP_1)
	v_lshrrev_b32_e32 v1, 16, v1
	v_add_nc_u32_e32 v5, ttmp9, v1
	v_mov_b32_e32 v1, 0
	v_mov_b32_e32 v2, 0
	;; [unrolled: 1-line block ×3, first 2 shown]
	s_wait_kmcnt 0x0
	v_cmp_lt_u64_e64 s2, s[10:11], 2
	s_delay_alu instid0(VALU_DEP_1)
	s_and_b32 vcc_lo, exec_lo, s2
	s_cbranch_vccnz .LBB0_8
; %bb.1:
	s_load_b64 s[2:3], s[0:1], 0x10
	v_mov_b32_e32 v1, 0
	v_mov_b32_e32 v2, 0
	s_add_nc_u64 s[16:17], s[14:15], 8
	s_add_nc_u64 s[18:19], s[12:13], 8
	s_mov_b64 s[20:21], 1
	s_delay_alu instid0(VALU_DEP_1)
	v_dual_mov_b32 v121, v2 :: v_dual_mov_b32 v120, v1
	s_wait_kmcnt 0x0
	s_add_nc_u64 s[22:23], s[2:3], 8
	s_mov_b32 s3, 0
.LBB0_2:                                ; =>This Inner Loop Header: Depth=1
	s_load_b64 s[24:25], s[22:23], 0x0
                                        ; implicit-def: $vgpr122_vgpr123
	s_mov_b32 s2, exec_lo
	s_wait_kmcnt 0x0
	v_or_b32_e32 v4, s25, v6
	s_delay_alu instid0(VALU_DEP_1)
	v_cmpx_ne_u64_e32 0, v[3:4]
	s_wait_alu 0xfffe
	s_xor_b32 s26, exec_lo, s2
	s_cbranch_execz .LBB0_4
; %bb.3:                                ;   in Loop: Header=BB0_2 Depth=1
	s_cvt_f32_u32 s2, s24
	s_cvt_f32_u32 s27, s25
	s_sub_nc_u64 s[30:31], 0, s[24:25]
	s_wait_alu 0xfffe
	s_delay_alu instid0(SALU_CYCLE_1) | instskip(SKIP_1) | instid1(SALU_CYCLE_2)
	s_fmamk_f32 s2, s27, 0x4f800000, s2
	s_wait_alu 0xfffe
	v_s_rcp_f32 s2, s2
	s_delay_alu instid0(TRANS32_DEP_1) | instskip(SKIP_1) | instid1(SALU_CYCLE_2)
	s_mul_f32 s2, s2, 0x5f7ffffc
	s_wait_alu 0xfffe
	s_mul_f32 s27, s2, 0x2f800000
	s_wait_alu 0xfffe
	s_delay_alu instid0(SALU_CYCLE_2) | instskip(SKIP_1) | instid1(SALU_CYCLE_2)
	s_trunc_f32 s27, s27
	s_wait_alu 0xfffe
	s_fmamk_f32 s2, s27, 0xcf800000, s2
	s_cvt_u32_f32 s29, s27
	s_wait_alu 0xfffe
	s_delay_alu instid0(SALU_CYCLE_1) | instskip(SKIP_1) | instid1(SALU_CYCLE_2)
	s_cvt_u32_f32 s28, s2
	s_wait_alu 0xfffe
	s_mul_u64 s[34:35], s[30:31], s[28:29]
	s_wait_alu 0xfffe
	s_mul_hi_u32 s37, s28, s35
	s_mul_i32 s36, s28, s35
	s_mul_hi_u32 s2, s28, s34
	s_mul_i32 s33, s29, s34
	s_wait_alu 0xfffe
	s_add_nc_u64 s[36:37], s[2:3], s[36:37]
	s_mul_hi_u32 s27, s29, s34
	s_mul_hi_u32 s38, s29, s35
	s_add_co_u32 s2, s36, s33
	s_wait_alu 0xfffe
	s_add_co_ci_u32 s2, s37, s27
	s_mul_i32 s34, s29, s35
	s_add_co_ci_u32 s35, s38, 0
	s_wait_alu 0xfffe
	s_add_nc_u64 s[34:35], s[2:3], s[34:35]
	s_wait_alu 0xfffe
	v_add_co_u32 v4, s2, s28, s34
	s_delay_alu instid0(VALU_DEP_1) | instskip(SKIP_1) | instid1(VALU_DEP_1)
	s_cmp_lg_u32 s2, 0
	s_add_co_ci_u32 s29, s29, s35
	v_readfirstlane_b32 s28, v4
	s_wait_alu 0xfffe
	s_delay_alu instid0(VALU_DEP_1)
	s_mul_u64 s[30:31], s[30:31], s[28:29]
	s_wait_alu 0xfffe
	s_mul_hi_u32 s35, s28, s31
	s_mul_i32 s34, s28, s31
	s_mul_hi_u32 s2, s28, s30
	s_mul_i32 s33, s29, s30
	s_wait_alu 0xfffe
	s_add_nc_u64 s[34:35], s[2:3], s[34:35]
	s_mul_hi_u32 s27, s29, s30
	s_mul_hi_u32 s28, s29, s31
	s_wait_alu 0xfffe
	s_add_co_u32 s2, s34, s33
	s_add_co_ci_u32 s2, s35, s27
	s_mul_i32 s30, s29, s31
	s_add_co_ci_u32 s31, s28, 0
	s_wait_alu 0xfffe
	s_add_nc_u64 s[30:31], s[2:3], s[30:31]
	s_wait_alu 0xfffe
	v_add_co_u32 v4, s2, v4, s30
	s_delay_alu instid0(VALU_DEP_1) | instskip(SKIP_1) | instid1(VALU_DEP_1)
	s_cmp_lg_u32 s2, 0
	s_add_co_ci_u32 s2, s29, s31
	v_mul_hi_u32 v13, v5, v4
	s_wait_alu 0xfffe
	v_mad_co_u64_u32 v[7:8], null, v5, s2, 0
	v_mad_co_u64_u32 v[9:10], null, v6, v4, 0
	;; [unrolled: 1-line block ×3, first 2 shown]
	s_delay_alu instid0(VALU_DEP_3) | instskip(SKIP_1) | instid1(VALU_DEP_4)
	v_add_co_u32 v4, vcc_lo, v13, v7
	s_wait_alu 0xfffd
	v_add_co_ci_u32_e32 v7, vcc_lo, 0, v8, vcc_lo
	s_delay_alu instid0(VALU_DEP_2) | instskip(SKIP_1) | instid1(VALU_DEP_2)
	v_add_co_u32 v4, vcc_lo, v4, v9
	s_wait_alu 0xfffd
	v_add_co_ci_u32_e32 v4, vcc_lo, v7, v10, vcc_lo
	s_wait_alu 0xfffd
	v_add_co_ci_u32_e32 v7, vcc_lo, 0, v12, vcc_lo
	s_delay_alu instid0(VALU_DEP_2) | instskip(SKIP_1) | instid1(VALU_DEP_2)
	v_add_co_u32 v4, vcc_lo, v4, v11
	s_wait_alu 0xfffd
	v_add_co_ci_u32_e32 v9, vcc_lo, 0, v7, vcc_lo
	s_delay_alu instid0(VALU_DEP_2) | instskip(SKIP_1) | instid1(VALU_DEP_3)
	v_mul_lo_u32 v10, s25, v4
	v_mad_co_u64_u32 v[7:8], null, s24, v4, 0
	v_mul_lo_u32 v11, s24, v9
	s_delay_alu instid0(VALU_DEP_2) | instskip(NEXT) | instid1(VALU_DEP_2)
	v_sub_co_u32 v7, vcc_lo, v5, v7
	v_add3_u32 v8, v8, v11, v10
	s_delay_alu instid0(VALU_DEP_1) | instskip(SKIP_1) | instid1(VALU_DEP_1)
	v_sub_nc_u32_e32 v10, v6, v8
	s_wait_alu 0xfffd
	v_subrev_co_ci_u32_e64 v10, s2, s25, v10, vcc_lo
	v_add_co_u32 v11, s2, v4, 2
	s_wait_alu 0xf1ff
	v_add_co_ci_u32_e64 v12, s2, 0, v9, s2
	v_sub_co_u32 v13, s2, v7, s24
	v_sub_co_ci_u32_e32 v8, vcc_lo, v6, v8, vcc_lo
	s_wait_alu 0xf1ff
	v_subrev_co_ci_u32_e64 v10, s2, 0, v10, s2
	s_delay_alu instid0(VALU_DEP_3) | instskip(NEXT) | instid1(VALU_DEP_3)
	v_cmp_le_u32_e32 vcc_lo, s24, v13
	v_cmp_eq_u32_e64 s2, s25, v8
	s_wait_alu 0xfffd
	v_cndmask_b32_e64 v13, 0, -1, vcc_lo
	v_cmp_le_u32_e32 vcc_lo, s25, v10
	s_wait_alu 0xfffd
	v_cndmask_b32_e64 v14, 0, -1, vcc_lo
	v_cmp_le_u32_e32 vcc_lo, s24, v7
	;; [unrolled: 3-line block ×3, first 2 shown]
	s_wait_alu 0xfffd
	v_cndmask_b32_e64 v15, 0, -1, vcc_lo
	v_cmp_eq_u32_e32 vcc_lo, s25, v10
	s_wait_alu 0xf1ff
	s_delay_alu instid0(VALU_DEP_2)
	v_cndmask_b32_e64 v7, v15, v7, s2
	s_wait_alu 0xfffd
	v_cndmask_b32_e32 v10, v14, v13, vcc_lo
	v_add_co_u32 v13, vcc_lo, v4, 1
	s_wait_alu 0xfffd
	v_add_co_ci_u32_e32 v14, vcc_lo, 0, v9, vcc_lo
	s_delay_alu instid0(VALU_DEP_3) | instskip(SKIP_1) | instid1(VALU_DEP_2)
	v_cmp_ne_u32_e32 vcc_lo, 0, v10
	s_wait_alu 0xfffd
	v_cndmask_b32_e32 v8, v14, v12, vcc_lo
	v_cndmask_b32_e32 v10, v13, v11, vcc_lo
	v_cmp_ne_u32_e32 vcc_lo, 0, v7
	s_wait_alu 0xfffd
	s_delay_alu instid0(VALU_DEP_2)
	v_dual_cndmask_b32 v123, v9, v8 :: v_dual_cndmask_b32 v122, v4, v10
.LBB0_4:                                ;   in Loop: Header=BB0_2 Depth=1
	s_wait_alu 0xfffe
	s_and_not1_saveexec_b32 s2, s26
	s_cbranch_execz .LBB0_6
; %bb.5:                                ;   in Loop: Header=BB0_2 Depth=1
	v_cvt_f32_u32_e32 v4, s24
	s_sub_co_i32 s26, 0, s24
	v_mov_b32_e32 v123, v3
	s_delay_alu instid0(VALU_DEP_2) | instskip(NEXT) | instid1(TRANS32_DEP_1)
	v_rcp_iflag_f32_e32 v4, v4
	v_mul_f32_e32 v4, 0x4f7ffffe, v4
	s_delay_alu instid0(VALU_DEP_1) | instskip(SKIP_1) | instid1(VALU_DEP_1)
	v_cvt_u32_f32_e32 v4, v4
	s_wait_alu 0xfffe
	v_mul_lo_u32 v7, s26, v4
	s_delay_alu instid0(VALU_DEP_1) | instskip(NEXT) | instid1(VALU_DEP_1)
	v_mul_hi_u32 v7, v4, v7
	v_add_nc_u32_e32 v4, v4, v7
	s_delay_alu instid0(VALU_DEP_1) | instskip(NEXT) | instid1(VALU_DEP_1)
	v_mul_hi_u32 v4, v5, v4
	v_mul_lo_u32 v7, v4, s24
	v_add_nc_u32_e32 v8, 1, v4
	s_delay_alu instid0(VALU_DEP_2) | instskip(NEXT) | instid1(VALU_DEP_1)
	v_sub_nc_u32_e32 v7, v5, v7
	v_subrev_nc_u32_e32 v9, s24, v7
	v_cmp_le_u32_e32 vcc_lo, s24, v7
	s_wait_alu 0xfffd
	s_delay_alu instid0(VALU_DEP_2) | instskip(NEXT) | instid1(VALU_DEP_1)
	v_dual_cndmask_b32 v7, v7, v9 :: v_dual_cndmask_b32 v4, v4, v8
	v_cmp_le_u32_e32 vcc_lo, s24, v7
	s_delay_alu instid0(VALU_DEP_2) | instskip(SKIP_1) | instid1(VALU_DEP_1)
	v_add_nc_u32_e32 v8, 1, v4
	s_wait_alu 0xfffd
	v_cndmask_b32_e32 v122, v4, v8, vcc_lo
.LBB0_6:                                ;   in Loop: Header=BB0_2 Depth=1
	s_wait_alu 0xfffe
	s_or_b32 exec_lo, exec_lo, s2
	v_mul_lo_u32 v4, v123, s24
	s_delay_alu instid0(VALU_DEP_2)
	v_mul_lo_u32 v9, v122, s25
	s_load_b64 s[26:27], s[18:19], 0x0
	v_mad_co_u64_u32 v[7:8], null, v122, s24, 0
	s_load_b64 s[24:25], s[16:17], 0x0
	s_add_nc_u64 s[20:21], s[20:21], 1
	s_add_nc_u64 s[16:17], s[16:17], 8
	s_wait_alu 0xfffe
	v_cmp_ge_u64_e64 s2, s[20:21], s[10:11]
	s_add_nc_u64 s[18:19], s[18:19], 8
	s_add_nc_u64 s[22:23], s[22:23], 8
	v_add3_u32 v4, v8, v9, v4
	v_sub_co_u32 v5, vcc_lo, v5, v7
	s_wait_alu 0xfffd
	s_delay_alu instid0(VALU_DEP_2) | instskip(SKIP_2) | instid1(VALU_DEP_1)
	v_sub_co_ci_u32_e32 v4, vcc_lo, v6, v4, vcc_lo
	s_and_b32 vcc_lo, exec_lo, s2
	s_wait_kmcnt 0x0
	v_mul_lo_u32 v6, s26, v4
	v_mul_lo_u32 v7, s27, v5
	v_mad_co_u64_u32 v[1:2], null, s26, v5, v[1:2]
	v_mul_lo_u32 v4, s24, v4
	v_mul_lo_u32 v8, s25, v5
	v_mad_co_u64_u32 v[120:121], null, s24, v5, v[120:121]
	s_delay_alu instid0(VALU_DEP_4) | instskip(NEXT) | instid1(VALU_DEP_2)
	v_add3_u32 v2, v7, v2, v6
	v_add3_u32 v121, v8, v121, v4
	s_wait_alu 0xfffe
	s_cbranch_vccnz .LBB0_9
; %bb.7:                                ;   in Loop: Header=BB0_2 Depth=1
	v_dual_mov_b32 v5, v122 :: v_dual_mov_b32 v6, v123
	s_branch .LBB0_2
.LBB0_8:
	v_dual_mov_b32 v121, v2 :: v_dual_mov_b32 v120, v1
	v_dual_mov_b32 v123, v6 :: v_dual_mov_b32 v122, v5
.LBB0_9:
	s_load_b64 s[0:1], s[0:1], 0x28
	v_mul_hi_u32 v3, 0x2222223, v0
	s_lshl_b64 s[10:11], s[10:11], 3
                                        ; implicit-def: $vgpr116
                                        ; implicit-def: $vgpr118
                                        ; implicit-def: $vgpr126
                                        ; implicit-def: $vgpr125
                                        ; implicit-def: $vgpr124
	s_wait_kmcnt 0x0
	v_cmp_gt_u64_e32 vcc_lo, s[0:1], v[122:123]
	v_cmp_le_u64_e64 s0, s[0:1], v[122:123]
	s_delay_alu instid0(VALU_DEP_1)
	s_and_saveexec_b32 s1, s0
	s_wait_alu 0xfffe
	s_xor_b32 s0, exec_lo, s1
; %bb.10:
	v_mul_u32_u24_e32 v1, 0x78, v3
                                        ; implicit-def: $vgpr3
	s_delay_alu instid0(VALU_DEP_1) | instskip(NEXT) | instid1(VALU_DEP_1)
	v_sub_nc_u32_e32 v116, v0, v1
                                        ; implicit-def: $vgpr0
                                        ; implicit-def: $vgpr1_vgpr2
	v_add_nc_u32_e32 v118, 0x78, v116
	v_add_nc_u32_e32 v126, 0xf0, v116
	;; [unrolled: 1-line block ×4, first 2 shown]
; %bb.11:
	s_wait_alu 0xfffe
	s_or_saveexec_b32 s1, s0
	s_add_nc_u64 s[2:3], s[14:15], s[10:11]
	s_wait_alu 0xfffe
	s_xor_b32 exec_lo, exec_lo, s1
	s_cbranch_execz .LBB0_13
; %bb.12:
	s_add_nc_u64 s[10:11], s[12:13], s[10:11]
	v_lshlrev_b64_e32 v[1:2], 4, v[1:2]
	s_load_b64 s[10:11], s[10:11], 0x0
	s_wait_kmcnt 0x0
	v_mul_lo_u32 v6, s11, v122
	v_mul_lo_u32 v7, s10, v123
	v_mad_co_u64_u32 v[4:5], null, s10, v122, 0
	s_delay_alu instid0(VALU_DEP_1) | instskip(SKIP_1) | instid1(VALU_DEP_2)
	v_add3_u32 v5, v5, v7, v6
	v_mul_u32_u24_e32 v6, 0x78, v3
	v_lshlrev_b64_e32 v[3:4], 4, v[4:5]
	s_delay_alu instid0(VALU_DEP_2) | instskip(NEXT) | instid1(VALU_DEP_1)
	v_sub_nc_u32_e32 v116, v0, v6
	v_lshlrev_b32_e32 v119, 4, v116
	s_delay_alu instid0(VALU_DEP_3) | instskip(SKIP_1) | instid1(VALU_DEP_4)
	v_add_co_u32 v0, s0, s4, v3
	s_wait_alu 0xf1ff
	v_add_co_ci_u32_e64 v3, s0, s5, v4, s0
	v_add_nc_u32_e32 v126, 0xf0, v116
	s_delay_alu instid0(VALU_DEP_3) | instskip(SKIP_1) | instid1(VALU_DEP_3)
	v_add_co_u32 v0, s0, v0, v1
	s_wait_alu 0xf1ff
	v_add_co_ci_u32_e64 v1, s0, v3, v2, s0
	v_add_nc_u32_e32 v125, 0x168, v116
	s_delay_alu instid0(VALU_DEP_3) | instskip(SKIP_1) | instid1(VALU_DEP_3)
	v_add_co_u32 v117, s0, v0, v119
	s_wait_alu 0xf1ff
	v_add_co_ci_u32_e64 v118, s0, 0, v1, s0
	s_clause 0x1d
	global_load_b128 v[0:3], v[117:118], off
	global_load_b128 v[4:7], v[117:118], off offset:1920
	global_load_b128 v[8:11], v[117:118], off offset:3840
	global_load_b128 v[12:15], v[117:118], off offset:5760
	global_load_b128 v[16:19], v[117:118], off offset:7680
	global_load_b128 v[20:23], v[117:118], off offset:9600
	global_load_b128 v[24:27], v[117:118], off offset:11520
	global_load_b128 v[28:31], v[117:118], off offset:13440
	global_load_b128 v[32:35], v[117:118], off offset:15360
	global_load_b128 v[36:39], v[117:118], off offset:17280
	global_load_b128 v[40:43], v[117:118], off offset:19200
	global_load_b128 v[44:47], v[117:118], off offset:21120
	global_load_b128 v[48:51], v[117:118], off offset:23040
	global_load_b128 v[52:55], v[117:118], off offset:24960
	global_load_b128 v[56:59], v[117:118], off offset:26880
	global_load_b128 v[60:63], v[117:118], off offset:28800
	global_load_b128 v[64:67], v[117:118], off offset:30720
	global_load_b128 v[68:71], v[117:118], off offset:32640
	global_load_b128 v[72:75], v[117:118], off offset:34560
	global_load_b128 v[76:79], v[117:118], off offset:36480
	global_load_b128 v[80:83], v[117:118], off offset:38400
	global_load_b128 v[84:87], v[117:118], off offset:40320
	global_load_b128 v[88:91], v[117:118], off offset:42240
	global_load_b128 v[92:95], v[117:118], off offset:44160
	global_load_b128 v[96:99], v[117:118], off offset:46080
	global_load_b128 v[100:103], v[117:118], off offset:48000
	global_load_b128 v[104:107], v[117:118], off offset:49920
	global_load_b128 v[108:111], v[117:118], off offset:51840
	global_load_b128 v[112:115], v[117:118], off offset:53760
	global_load_b128 v[127:130], v[117:118], off offset:55680
	v_add_nc_u32_e32 v117, 0, v119
	v_add_nc_u32_e32 v118, 0x78, v116
	;; [unrolled: 1-line block ×3, first 2 shown]
	s_wait_loadcnt 0x1d
	ds_store_b128 v117, v[0:3]
	s_wait_loadcnt 0x1c
	ds_store_b128 v117, v[4:7] offset:1920
	s_wait_loadcnt 0x1b
	ds_store_b128 v117, v[8:11] offset:3840
	;; [unrolled: 2-line block ×29, first 2 shown]
.LBB0_13:
	s_or_b32 exec_lo, exec_lo, s1
	v_lshlrev_b32_e32 v117, 4, v116
	s_load_b64 s[2:3], s[2:3], 0x0
	global_wb scope:SCOPE_SE
	s_wait_dscnt 0x0
	s_wait_kmcnt 0x0
	s_barrier_signal -1
	s_barrier_wait -1
	v_add_nc_u32_e32 v181, 0, v117
	global_inv scope:SCOPE_SE
	s_mov_b32 s0, 0x134454ff
	s_mov_b32 s1, 0x3fee6f0e
	;; [unrolled: 1-line block ×3, first 2 shown]
	ds_load_b128 v[0:3], v181 offset:11520
	ds_load_b128 v[24:27], v181 offset:5760
	ds_load_b128 v[36:39], v181
	ds_load_b128 v[40:43], v181 offset:17280
	ds_load_b128 v[32:35], v181 offset:1920
	ds_load_b128 v[16:19], v181 offset:13440
	ds_load_b128 v[44:47], v181 offset:23040
	ds_load_b128 v[20:23], v181 offset:24960
	ds_load_b128 v[28:31], v181 offset:34560
	ds_load_b128 v[12:15], v181 offset:36480
	ds_load_b128 v[8:11], v181 offset:46080
	ds_load_b128 v[4:7], v181 offset:48000
	ds_load_b128 v[48:51], v181 offset:3840
	ds_load_b128 v[56:59], v181 offset:15360
	ds_load_b128 v[60:63], v181 offset:28800
	ds_load_b128 v[64:67], v181 offset:26880
	ds_load_b128 v[68:71], v181 offset:40320
	ds_load_b128 v[72:75], v181 offset:38400
	ds_load_b128 v[76:79], v181 offset:51840
	ds_load_b128 v[80:83], v181 offset:49920
	ds_load_b128 v[84:87], v181 offset:7680
	ds_load_b128 v[88:91], v181 offset:9600
	s_wait_dscnt 0x13
	v_add_f64_e32 v[133:134], v[38:39], v[2:3]
	v_add_f64_e32 v[131:132], v[36:37], v[0:1]
	s_wait_dscnt 0x12
	v_add_f64_e32 v[135:136], v[24:25], v[40:41]
	v_add_f64_e32 v[137:138], v[26:27], v[42:43]
	s_wait_dscnt 0xf
	v_add_f64_e64 v[163:164], v[2:3], -v[46:47]
	v_add_f64_e64 v[165:166], v[46:47], -v[2:3]
	s_wait_dscnt 0xd
	v_add_f64_e32 v[139:140], v[44:45], v[28:29]
	v_add_f64_e32 v[159:160], v[46:47], v[30:31]
	s_wait_dscnt 0xb
	v_add_f64_e64 v[141:142], v[2:3], -v[10:11]
	v_add_f64_e32 v[153:154], v[0:1], v[8:9]
	v_add_f64_e32 v[2:3], v[2:3], v[10:11]
	v_add_f64_e64 v[155:156], v[44:45], -v[0:1]
	v_add_f64_e64 v[157:158], v[28:29], -v[8:9]
	;; [unrolled: 1-line block ×3, first 2 shown]
	s_wait_dscnt 0x5
	v_add_f64_e32 v[167:168], v[60:61], v[68:69]
	v_add_f64_e32 v[171:172], v[62:63], v[70:71]
	s_wait_dscnt 0x3
	v_add_f64_e32 v[169:170], v[40:41], v[76:77]
	v_add_f64_e32 v[173:174], v[42:43], v[78:79]
	v_add_f64_e64 v[192:193], v[62:63], -v[70:71]
	s_wait_alu 0xfffe
	s_mov_b32 s4, s0
	v_add_f64_e64 v[149:150], v[0:1], -v[44:45]
	v_add_f64_e64 v[151:152], v[8:9], -v[28:29]
	;; [unrolled: 1-line block ×3, first 2 shown]
	v_add_f64_e32 v[175:176], v[20:21], v[12:13]
	v_add_f64_e32 v[177:178], v[16:17], v[4:5]
	v_add_f64_e64 v[188:189], v[10:11], -v[30:31]
	v_add_f64_e64 v[194:195], v[40:41], -v[60:61]
	;; [unrolled: 1-line block ×5, first 2 shown]
	s_mov_b32 s10, 0x4755a5e
	s_mov_b32 s11, 0x3fe2cf23
	;; [unrolled: 1-line block ×3, first 2 shown]
	s_wait_alu 0xfffe
	s_mov_b32 s12, s10
	v_add_f64_e32 v[143:144], v[32:33], v[16:17]
	v_add_f64_e64 v[147:148], v[46:47], -v[30:31]
	v_add_f64_e32 v[179:180], v[22:23], v[14:15]
	v_add_f64_e32 v[182:183], v[18:19], v[6:7]
	v_add_f64_e32 v[46:47], v[133:134], v[46:47]
	v_add_f64_e32 v[44:45], v[131:132], v[44:45]
	v_add_f64_e32 v[135:136], v[135:136], v[60:61]
	v_add_f64_e32 v[137:138], v[137:138], v[62:63]
	v_add_f64_e64 v[60:61], v[60:61], -v[68:69]
	v_add_f64_e64 v[62:63], v[62:63], -v[42:43]
	v_fma_f64 v[139:140], v[139:140], -0.5, v[36:37]
	v_add_f64_e64 v[42:43], v[42:43], -v[78:79]
	v_add_f64_e64 v[204:205], v[76:77], -v[68:69]
	v_fma_f64 v[36:37], v[153:154], -0.5, v[36:37]
	v_fma_f64 v[153:154], v[159:160], -0.5, v[38:39]
	;; [unrolled: 1-line block ×3, first 2 shown]
	v_add_f64_e32 v[155:156], v[155:156], v[157:158]
	v_add_f64_e32 v[157:158], v[165:166], v[190:191]
	v_fma_f64 v[38:39], v[167:168], -0.5, v[24:25]
	v_fma_f64 v[159:160], v[171:172], -0.5, v[26:27]
	;; [unrolled: 1-line block ×4, first 2 shown]
	v_add_f64_e64 v[206:207], v[68:69], -v[76:77]
	v_add_f64_e32 v[145:146], v[34:35], v[18:19]
	v_add_f64_e64 v[0:1], v[0:1], -v[8:9]
	v_add_f64_e32 v[149:150], v[149:150], v[151:152]
	v_add_f64_e64 v[208:209], v[78:79], -v[70:71]
	v_fma_f64 v[167:168], v[175:176], -0.5, v[32:33]
	v_fma_f64 v[169:170], v[177:178], -0.5, v[32:33]
	v_add_f64_e32 v[151:152], v[163:164], v[188:189]
	v_add_f64_e64 v[210:211], v[70:71], -v[78:79]
	ds_load_b128 v[92:95], v181 offset:19200
	ds_load_b128 v[96:99], v181 offset:21120
	;; [unrolled: 1-line block ×8, first 2 shown]
	s_mov_b32 s14, 0x372fe950
	s_mov_b32 s15, 0x3fd3c6ef
	;; [unrolled: 1-line block ×4, first 2 shown]
	v_add_f64_e64 v[177:178], v[16:17], -v[4:5]
	v_add_f64_e32 v[143:144], v[143:144], v[20:21]
	v_add_f64_e64 v[214:215], v[66:67], -v[74:75]
	v_fma_f64 v[171:172], v[179:180], -0.5, v[34:35]
	v_fma_f64 v[173:174], v[182:183], -0.5, v[34:35]
	v_add_f64_e32 v[30:31], v[46:47], v[30:31]
	v_add_f64_e32 v[28:29], v[44:45], v[28:29]
	;; [unrolled: 1-line block ×4, first 2 shown]
	v_add_f64_e64 v[135:136], v[22:23], -v[18:19]
	v_add_f64_e64 v[137:138], v[18:19], -v[6:7]
	s_wait_dscnt 0x7
	v_add_f64_e32 v[202:203], v[86:87], v[94:95]
	v_add_f64_e32 v[200:201], v[84:85], v[92:93]
	s_wait_dscnt 0x3
	v_add_f64_e32 v[131:132], v[102:103], v[110:111]
	s_wait_dscnt 0x1
	v_add_f64_e32 v[133:134], v[94:95], v[129:130]
	v_add_f64_e64 v[179:180], v[6:7], -v[14:15]
	v_add_f64_e64 v[182:183], v[14:15], -v[6:7]
	v_add_f64_e32 v[184:185], v[100:101], v[108:109]
	v_add_f64_e32 v[186:187], v[92:93], v[127:128]
	v_fma_f64 v[188:189], v[42:43], s[0:1], v[38:39]
	v_fma_f64 v[38:39], v[42:43], s[4:5], v[38:39]
	;; [unrolled: 1-line block ×6, first 2 shown]
	v_add_f64_e32 v[163:164], v[196:197], v[206:207]
	v_add_f64_e32 v[145:146], v[145:146], v[22:23]
	v_add_f64_e64 v[68:69], v[20:21], -v[16:17]
	v_add_f64_e64 v[70:71], v[20:21], -v[12:13]
	v_add_f64_e32 v[220:221], v[66:67], v[74:75]
	v_add_f64_e64 v[222:223], v[58:59], -v[66:67]
	v_add_f64_e32 v[62:63], v[62:63], v[210:211]
	v_add_f64_e64 v[224:225], v[58:59], -v[82:83]
	v_add_f64_e64 v[206:207], v[96:97], -v[104:105]
	v_add_f64_e32 v[212:213], v[64:65], v[72:73]
	v_add_f64_e64 v[216:217], v[56:57], -v[64:65]
	v_add_f64_e64 v[218:219], v[64:65], -v[56:57]
	v_add_f64_e32 v[226:227], v[56:57], v[80:81]
	global_wb scope:SCOPE_SE
	s_wait_dscnt 0x0
	s_barrier_signal -1
	s_barrier_wait -1
	global_inv scope:SCOPE_SE
	v_add_f64_e32 v[10:11], v[30:31], v[10:11]
	v_add_f64_e32 v[8:9], v[28:29], v[8:9]
	;; [unrolled: 1-line block ×6, first 2 shown]
	v_add_f64_e64 v[208:209], v[104:105], -v[96:97]
	v_fma_f64 v[44:45], v[131:132], -0.5, v[86:87]
	v_fma_f64 v[46:47], v[133:134], -0.5, v[86:87]
	v_add_f64_e64 v[86:87], v[22:23], -v[14:15]
	v_add_f64_e64 v[133:134], v[18:19], -v[22:23]
	;; [unrolled: 1-line block ×3, first 2 shown]
	v_add_f64_e32 v[16:17], v[143:144], v[12:13]
	v_add_f64_e64 v[143:144], v[4:5], -v[12:13]
	v_fma_f64 v[38:39], v[192:193], s[12:13], v[38:39]
	v_fma_f64 v[165:166], v[42:43], s[10:11], v[165:166]
	;; [unrolled: 1-line block ×5, first 2 shown]
	v_fma_f64 v[175:176], v[184:185], -0.5, v[84:85]
	v_add_f64_e32 v[18:19], v[145:146], v[14:15]
	v_add_f64_e32 v[14:15], v[202:203], v[102:103]
	v_add_f64_e32 v[202:203], v[50:51], v[58:59]
	v_add_f64_e64 v[145:146], v[12:13], -v[4:5]
	v_add_f64_e32 v[12:13], v[200:201], v[100:101]
	v_add_f64_e32 v[200:201], v[48:49], v[56:57]
	v_fma_f64 v[84:85], v[186:187], -0.5, v[84:85]
	v_add_f64_e64 v[20:21], v[102:103], -v[110:111]
	v_add_f64_e64 v[186:187], v[94:95], -v[102:103]
	;; [unrolled: 1-line block ×9, first 2 shown]
	v_add_f64_e32 v[133:134], v[133:134], v[179:180]
	v_add_f64_e32 v[76:77], v[16:17], v[4:5]
	v_add_f64_e64 v[16:17], v[127:128], -v[108:109]
	v_fma_f64 v[165:166], v[163:164], s[14:15], v[165:166]
	v_fma_f64 v[24:25], v[163:164], s[14:15], v[24:25]
	;; [unrolled: 1-line block ×12, first 2 shown]
	v_add_f64_e32 v[202:203], v[202:203], v[66:67]
	v_add_f64_e32 v[200:201], v[200:201], v[64:65]
	;; [unrolled: 1-line block ×5, first 2 shown]
	v_add_f64_e64 v[18:19], v[108:109], -v[127:128]
	v_add_f64_e64 v[108:109], v[129:130], -v[110:111]
	;; [unrolled: 1-line block ×4, first 2 shown]
	v_add_f64_e32 v[58:59], v[58:59], v[82:83]
	v_add_f64_e64 v[64:65], v[64:65], -v[72:73]
	v_add_f64_e32 v[68:69], v[68:69], v[145:146]
	v_fma_f64 v[42:43], v[62:63], s[14:15], v[42:43]
	v_fma_f64 v[26:27], v[62:63], s[14:15], v[26:27]
	v_fma_f64 v[40:41], v[32:33], s[14:15], v[40:41]
	v_fma_f64 v[188:189], v[34:35], s[14:15], v[188:189]
	v_fma_f64 v[60:61], v[34:35], s[14:15], v[60:61]
	v_add_f64_e32 v[34:35], v[96:97], v[52:53]
	v_fma_f64 v[194:195], v[0:1], s[10:11], v[2:3]
	v_fma_f64 v[2:3], v[141:142], s[4:5], v[139:140]
	v_fma_f64 v[139:140], v[32:33], s[14:15], v[38:39]
	v_add_f64_e32 v[32:33], v[104:105], v[112:113]
	v_fma_f64 v[190:191], v[141:142], s[10:11], v[190:191]
	v_fma_f64 v[192:193], v[141:142], s[12:13], v[36:37]
	;; [unrolled: 1-line block ×5, first 2 shown]
	v_add_f64_e32 v[36:37], v[106:107], v[114:115]
	v_add_f64_e32 v[38:39], v[98:99], v[54:55]
	;; [unrolled: 1-line block ×4, first 2 shown]
	v_add_f64_e64 v[202:203], v[82:83], -v[74:75]
	v_add_f64_e64 v[74:75], v[74:75], -v[82:83]
	v_add_f64_e32 v[127:128], v[4:5], v[127:128]
	v_add_f64_e64 v[200:201], v[80:81], -v[72:73]
	v_add_f64_e64 v[72:73], v[72:73], -v[80:81]
	v_add_f64_e32 v[129:130], v[6:7], v[129:130]
	v_add_f64_e32 v[184:185], v[184:185], v[18:19]
	;; [unrolled: 1-line block ×4, first 2 shown]
	v_fma_f64 v[153:154], v[34:35], -0.5, v[88:89]
	v_mul_f64_e32 v[34:35], s[12:13], v[40:41]
	v_fma_f64 v[141:142], v[32:33], -0.5, v[88:89]
	v_mul_f64_e32 v[32:33], s[16:17], v[40:41]
	v_add_f64_e32 v[88:89], v[88:89], v[96:97]
	v_add_f64_e64 v[96:97], v[96:97], -v[52:53]
	v_fma_f64 v[159:160], v[157:158], s[14:15], v[159:160]
	v_fma_f64 v[196:197], v[36:37], -0.5, v[90:91]
	v_fma_f64 v[198:199], v[38:39], -0.5, v[90:91]
	v_add_f64_e32 v[90:91], v[90:91], v[98:99]
	v_add_f64_e32 v[82:83], v[14:15], v[82:83]
	;; [unrolled: 1-line block ×5, first 2 shown]
	v_fma_f64 v[40:41], v[188:189], s[10:11], v[32:33]
	v_mul_f64_e32 v[32:33], s[0:1], v[42:43]
	v_fma_f64 v[188:189], v[188:189], s[16:17], v[34:35]
	v_fma_f64 v[34:35], v[161:162], s[12:13], v[62:63]
	;; [unrolled: 1-line block ×3, first 2 shown]
	v_add_f64_e64 v[0:1], v[8:9], -v[28:29]
	v_fma_f64 v[204:205], v[165:166], s[14:15], v[32:33]
	v_mul_f64_e32 v[32:33], s[4:5], v[165:166]
	v_fma_f64 v[165:166], v[155:156], s[14:15], v[190:191]
	v_add_f64_e64 v[190:191], v[106:107], -v[114:115]
	s_delay_alu instid0(VALU_DEP_3)
	v_fma_f64 v[42:43], v[42:43], s[14:15], v[32:33]
	v_fma_f64 v[32:33], v[147:148], s[10:11], v[163:164]
	;; [unrolled: 1-line block ×4, first 2 shown]
	v_add_f64_e32 v[34:35], v[10:11], v[30:31]
	v_add_f64_e64 v[2:3], v[10:11], -v[30:31]
	v_add_f64_e64 v[30:31], v[98:99], -v[106:107]
	v_add_f64_e32 v[12:13], v[165:166], v[204:205]
	v_fma_f64 v[151:152], v[151:152], s[14:15], v[161:162]
	v_fma_f64 v[161:162], v[94:95], s[4:5], v[175:176]
	;; [unrolled: 1-line block ×4, first 2 shown]
	v_add_f64_e32 v[14:15], v[159:160], v[42:43]
	v_fma_f64 v[62:63], v[149:150], s[14:15], v[32:33]
	v_add_f64_e32 v[32:33], v[8:9], v[28:29]
	v_mul_f64_e32 v[28:29], s[14:15], v[24:25]
	v_add_f64_e64 v[10:11], v[159:160], -v[42:43]
	v_add_f64_e32 v[42:43], v[88:89], v[104:105]
	v_add_f64_e64 v[88:89], v[106:107], -v[98:99]
	v_fma_f64 v[147:148], v[149:150], s[14:15], v[147:148]
	v_fma_f64 v[149:150], v[94:95], s[0:1], v[175:176]
	;; [unrolled: 1-line block ×4, first 2 shown]
	v_add_f64_e32 v[38:39], v[163:164], v[188:189]
	v_add_f64_e64 v[6:7], v[163:164], -v[188:189]
	v_add_f64_e64 v[8:9], v[165:166], -v[204:205]
	v_fma_f64 v[163:164], v[92:93], s[0:1], v[44:45]
	v_add_f64_e64 v[175:176], v[114:115], -v[54:55]
	v_fma_f64 v[44:45], v[92:93], s[4:5], v[44:45]
	v_add_f64_e32 v[36:37], v[62:63], v[40:41]
	v_add_f64_e64 v[4:5], v[62:63], -v[40:41]
	v_add_f64_e64 v[40:41], v[104:105], -v[112:113]
	v_add_f64_e32 v[62:63], v[90:91], v[106:107]
	v_add_f64_e64 v[90:91], v[98:99], -v[54:55]
	v_mul_f64_e32 v[98:99], s[14:15], v[26:27]
	v_fma_f64 v[104:105], v[155:156], s[14:15], v[192:193]
	v_mul_f64_e32 v[106:107], s[16:17], v[139:140]
	v_fma_f64 v[155:156], v[157:158], s[14:15], v[194:195]
	v_mul_f64_e32 v[157:158], s[16:17], v[60:61]
	v_fma_f64 v[26:27], v[26:27], s[0:1], -v[28:29]
	v_fma_f64 v[28:29], v[100:101], s[0:1], v[46:47]
	v_fma_f64 v[46:47], v[100:101], s[4:5], v[46:47]
	;; [unrolled: 1-line block ×5, first 2 shown]
	v_add_f64_e64 v[94:95], v[54:55], -v[114:115]
	v_fma_f64 v[192:193], v[220:221], -0.5, v[50:51]
	v_fma_f64 v[44:45], v[100:101], s[12:13], v[44:45]
	v_add_f64_e32 v[88:89], v[88:89], v[175:176]
	v_fma_f64 v[50:51], v[58:59], -0.5, v[50:51]
	v_add_f64_e32 v[42:43], v[42:43], v[112:113]
	v_fma_f64 v[18:19], v[40:41], s[0:1], v[198:199]
	v_fma_f64 v[186:187], v[40:41], s[4:5], v[198:199]
	;; [unrolled: 1-line block ×3, first 2 shown]
	v_fma_f64 v[24:25], v[24:25], s[4:5], -v[98:99]
	v_add_f64_e64 v[98:99], v[52:53], -v[112:113]
	v_fma_f64 v[60:61], v[60:61], s[10:11], -v[106:107]
	v_add_f64_e64 v[106:107], v[112:113], -v[52:53]
	v_fma_f64 v[139:140], v[139:140], s[12:13], -v[157:158]
	v_add_f64_e32 v[157:158], v[22:23], v[16:17]
	v_fma_f64 v[188:189], v[92:93], s[12:13], v[28:29]
	v_fma_f64 v[28:29], v[90:91], s[4:5], v[141:142]
	;; [unrolled: 1-line block ×5, first 2 shown]
	v_add_f64_e32 v[20:21], v[104:105], v[26:27]
	v_add_f64_e64 v[16:17], v[104:105], -v[26:27]
	v_fma_f64 v[104:105], v[212:213], -0.5, v[48:49]
	v_fma_f64 v[161:162], v[100:101], s[10:11], v[163:164]
	v_fma_f64 v[163:164], v[96:97], s[4:5], v[196:197]
	;; [unrolled: 1-line block ×3, first 2 shown]
	v_fma_f64 v[48:49], v[226:227], -0.5, v[48:49]
	v_fma_f64 v[58:59], v[90:91], s[12:13], v[153:154]
	v_add_f64_e32 v[94:95], v[30:31], v[94:95]
	v_fma_f64 v[153:154], v[137:138], s[0:1], v[167:168]
	v_fma_f64 v[84:85], v[184:185], s[14:15], v[84:85]
	;; [unrolled: 1-line block ×3, first 2 shown]
	v_add_f64_e32 v[62:63], v[62:63], v[114:115]
	v_fma_f64 v[44:45], v[108:109], s[14:15], v[44:45]
	v_add_f64_e32 v[179:180], v[42:43], v[52:53]
	v_mul_u32_u24_e32 v42, 10, v116
	s_delay_alu instid0(VALU_DEP_1)
	v_lshl_add_u32 v119, v42, 4, 0
	ds_store_b128 v119, v[32:35]
	ds_store_b128 v119, v[36:39] offset:16
	v_fma_f64 v[165:166], v[190:191], s[10:11], v[165:166]
	v_fma_f64 v[90:91], v[96:97], s[10:11], v[186:187]
	v_add_f64_e32 v[98:99], v[206:207], v[98:99]
	v_add_f64_e32 v[22:23], v[155:156], v[24:25]
	;; [unrolled: 1-line block ×4, first 2 shown]
	v_fma_f64 v[100:101], v[157:158], s[14:15], v[149:150]
	v_fma_f64 v[149:150], v[96:97], s[12:13], v[18:19]
	;; [unrolled: 1-line block ×3, first 2 shown]
	v_add_f64_e64 v[18:19], v[155:156], -v[24:25]
	v_fma_f64 v[92:93], v[40:41], s[10:11], v[92:93]
	v_add_f64_e32 v[24:25], v[147:148], v[60:61]
	v_add_f64_e64 v[28:29], v[147:148], -v[60:61]
	v_add_f64_e64 v[30:31], v[151:152], -v[139:140]
	v_fma_f64 v[60:61], v[86:87], s[4:5], v[169:170]
	v_fma_f64 v[112:113], v[102:103], s[14:15], v[188:189]
	;; [unrolled: 1-line block ×9, first 2 shown]
	v_add_f64_e32 v[102:103], v[131:132], v[143:144]
	v_fma_f64 v[114:115], v[157:158], s[14:15], v[141:142]
	v_fma_f64 v[131:132], v[108:109], s[14:15], v[161:162]
	;; [unrolled: 1-line block ×9, first 2 shown]
	v_add_f64_e32 v[32:33], v[76:77], v[127:128]
	v_add_f64_e32 v[34:35], v[78:79], v[129:130]
	v_add_f64_e64 v[36:37], v[76:77], -v[127:128]
	v_add_f64_e64 v[38:39], v[78:79], -v[129:130]
	;; [unrolled: 1-line block ×3, first 2 shown]
	ds_store_b128 v119, v[12:15] offset:32
	ds_store_b128 v119, v[20:23] offset:48
	;; [unrolled: 1-line block ×4, first 2 shown]
	v_fma_f64 v[141:142], v[98:99], s[14:15], v[165:166]
	v_fma_f64 v[149:150], v[88:89], s[14:15], v[149:150]
	;; [unrolled: 1-line block ×9, first 2 shown]
	v_mul_f64_e32 v[108:109], s[16:17], v[100:101]
	v_mul_f64_e32 v[98:99], s[12:13], v[100:101]
	v_add_f64_e32 v[100:101], v[135:136], v[182:183]
	v_fma_f64 v[60:61], v[137:138], s[10:11], v[60:61]
	v_mul_f64_e32 v[106:107], s[0:1], v[112:113]
	v_mul_f64_e32 v[135:136], s[4:5], v[139:140]
	v_fma_f64 v[137:138], v[137:138], s[12:13], v[147:148]
	v_fma_f64 v[145:146], v[177:178], s[12:13], v[151:152]
	v_fma_f64 v[147:148], v[86:87], s[10:11], v[153:154]
	v_fma_f64 v[151:152], v[70:71], s[12:13], v[155:156]
	v_mul_f64_e32 v[155:156], s[14:15], v[84:85]
	v_fma_f64 v[153:154], v[177:178], s[10:11], v[159:160]
	v_fma_f64 v[86:87], v[86:87], s[12:13], v[167:168]
	;; [unrolled: 1-line block ×3, first 2 shown]
	v_mul_f64_e32 v[159:160], s[14:15], v[46:47]
	v_add_f64_e32 v[165:166], v[216:217], v[200:201]
	v_add_f64_e32 v[167:168], v[222:223], v[202:203]
	v_mul_f64_e32 v[169:170], s[16:17], v[114:115]
	v_mul_f64_e32 v[171:172], s[16:17], v[131:132]
	v_fma_f64 v[40:41], v[94:95], s[14:15], v[40:41]
	v_fma_f64 v[143:144], v[214:215], s[10:11], v[143:144]
	;; [unrolled: 1-line block ×7, first 2 shown]
	v_add_f64_e32 v[182:183], v[62:63], v[54:55]
	ds_store_b128 v119, v[4:7] offset:96
	ds_store_b128 v119, v[8:11] offset:112
	;; [unrolled: 1-line block ×4, first 2 shown]
	v_lshl_add_u32 v184, v125, 4, 0
	v_mul_f64_e32 v[94:95], s[16:17], v[141:142]
	v_mul_f64_e32 v[141:142], s[12:13], v[141:142]
	;; [unrolled: 1-line block ×6, first 2 shown]
	v_fma_f64 v[90:91], v[214:215], s[12:13], v[90:91]
	v_fma_f64 v[64:65], v[64:65], s[10:11], v[104:105]
	v_mul_f64_e32 v[104:105], s[16:17], v[96:97]
	v_mul_f64_e32 v[177:178], s[16:17], v[92:93]
	v_fma_f64 v[52:53], v[44:45], s[10:11], v[108:109]
	v_fma_f64 v[54:55], v[44:45], s[16:17], v[98:99]
	;; [unrolled: 1-line block ×9, first 2 shown]
	v_fma_f64 v[112:113], v[46:47], s[0:1], -v[155:156]
	v_fma_f64 v[100:101], v[100:101], s[14:15], v[153:154]
	v_fma_f64 v[86:87], v[102:103], s[14:15], v[86:87]
	;; [unrolled: 1-line block ×3, first 2 shown]
	v_fma_f64 v[84:85], v[84:85], s[4:5], -v[159:160]
	v_fma_f64 v[102:103], v[131:132], s[10:11], -v[169:170]
	;; [unrolled: 1-line block ×3, first 2 shown]
	v_fma_f64 v[133:134], v[165:166], s[14:15], v[143:144]
	v_fma_f64 v[135:136], v[167:168], s[14:15], v[157:158]
	;; [unrolled: 1-line block ×5, first 2 shown]
	v_add_f64_e32 v[72:73], v[80:81], v[179:180]
	v_add_f64_e64 v[78:79], v[82:83], -v[182:183]
	v_fma_f64 v[94:95], v[40:41], s[10:11], v[94:95]
	v_fma_f64 v[131:132], v[40:41], s[16:17], v[141:142]
	;; [unrolled: 1-line block ×5, first 2 shown]
	v_fma_f64 v[147:148], v[88:89], s[0:1], -v[56:57]
	v_fma_f64 v[149:150], v[58:59], s[4:5], -v[175:176]
	v_fma_f64 v[151:152], v[165:166], s[14:15], v[90:91]
	v_fma_f64 v[153:154], v[167:168], s[14:15], v[64:65]
	v_fma_f64 v[155:156], v[92:93], s[10:11], -v[104:105]
	v_fma_f64 v[157:158], v[96:97], s[12:13], -v[177:178]
	v_add_f64_e32 v[74:75], v[82:83], v[182:183]
	v_and_b32_e32 v177, 0xff, v118
	v_add_f64_e32 v[48:49], v[60:61], v[62:63]
	v_add_f64_e32 v[50:51], v[108:109], v[98:99]
	;; [unrolled: 1-line block ×3, first 2 shown]
	v_add_f64_e64 v[44:45], v[44:45], -v[52:53]
	v_add_f64_e64 v[52:53], v[60:61], -v[62:63]
	v_add_f64_e32 v[56:57], v[68:69], v[112:113]
	v_add_f64_e64 v[60:61], v[68:69], -v[112:113]
	v_and_b32_e32 v113, 0xff, v116
	v_add_f64_e64 v[46:47], v[106:107], -v[54:55]
	v_add_f64_e32 v[58:59], v[100:101], v[84:85]
	v_add_f64_e64 v[62:63], v[100:101], -v[84:85]
	v_add_f64_e32 v[64:65], v[86:87], v[102:103]
	v_add_f64_e32 v[66:67], v[70:71], v[114:115]
	v_add_f64_e64 v[68:69], v[86:87], -v[102:103]
	v_add_f64_e32 v[42:43], v[106:107], v[54:55]
	v_add_f64_e64 v[54:55], v[108:109], -v[98:99]
	v_add_f64_e64 v[70:71], v[70:71], -v[114:115]
	v_mul_lo_u16 v0, 0xcd, v113
	v_mul_i32_i24_e32 v112, 10, v118
	s_delay_alu instid0(VALU_DEP_2)
	v_lshrrev_b16 v178, 11, v0
	v_add_f64_e64 v[84:85], v[133:134], -v[94:95]
	v_add_f64_e64 v[86:87], v[135:136], -v[131:132]
	v_add_f64_e32 v[88:89], v[139:140], v[110:111]
	v_add_f64_e32 v[80:81], v[133:134], v[94:95]
	;; [unrolled: 1-line block ×5, first 2 shown]
	v_add_f64_e64 v[100:101], v[139:140], -v[110:111]
	v_add_f64_e64 v[102:103], v[141:142], -v[137:138]
	v_add_f64_e32 v[96:97], v[151:152], v[155:156]
	v_add_f64_e32 v[98:99], v[153:154], v[157:158]
	v_add_f64_e64 v[104:105], v[143:144], -v[147:148]
	v_add_f64_e64 v[106:107], v[145:146], -v[149:150]
	v_add_f64_e32 v[82:83], v[135:136], v[131:132]
	v_add_f64_e64 v[108:109], v[151:152], -v[155:156]
	v_add_f64_e64 v[110:111], v[153:154], -v[157:158]
	v_mul_i32_i24_e32 v0, 10, v126
	v_mul_lo_u16 v1, v178, 10
	v_lshl_add_u32 v183, v112, 4, 0
	ds_store_b128 v183, v[32:35]
	ds_store_b128 v183, v[40:43] offset:16
	v_lshl_add_u32 v182, v0, 4, 0
	v_sub_nc_u16 v0, v116, v1
	ds_store_b128 v183, v[48:51] offset:32
	ds_store_b128 v183, v[56:59] offset:48
	;; [unrolled: 1-line block ×8, first 2 shown]
	ds_store_b128 v182, v[72:75]
	ds_store_b128 v182, v[80:83] offset:16
	v_and_b32_e32 v179, 0xff, v0
	ds_store_b128 v182, v[88:91] offset:32
	ds_store_b128 v182, v[92:95] offset:48
	ds_store_b128 v182, v[96:99] offset:64
	ds_store_b128 v182, v[76:79] offset:80
	ds_store_b128 v182, v[84:87] offset:96
	ds_store_b128 v182, v[100:103] offset:112
	ds_store_b128 v182, v[104:107] offset:128
	ds_store_b128 v182, v[108:111] offset:144
	global_wb scope:SCOPE_SE
	s_wait_dscnt 0x0
	s_barrier_signal -1
	v_mul_u32_u24_e32 v0, 9, v179
	s_barrier_wait -1
	global_inv scope:SCOPE_SE
	v_mul_lo_u16 v1, 0xcd, v177
	v_mad_i32_i24 v119, 0xffffff70, v118, v183
	v_lshlrev_b32_e32 v0, 4, v0
	s_clause 0x8
	global_load_b128 v[48:51], v0, s[8:9]
	global_load_b128 v[68:71], v0, s[8:9] offset:16
	global_load_b128 v[64:67], v0, s[8:9] offset:32
	;; [unrolled: 1-line block ×8, first 2 shown]
	v_lshrrev_b16 v186, 11, v1
	v_mad_i32_i24 v185, 0xffffff70, v126, v182
	s_delay_alu instid0(VALU_DEP_2) | instskip(NEXT) | instid1(VALU_DEP_1)
	v_mul_lo_u16 v1, v186, 10
	v_sub_nc_u16 v1, v118, v1
	s_delay_alu instid0(VALU_DEP_1) | instskip(SKIP_1) | instid1(VALU_DEP_2)
	v_and_b32_e32 v180, 0xff, v1
	v_and_b32_e32 v1, 0xffff, v126
	v_mul_u32_u24_e32 v0, 9, v180
	s_delay_alu instid0(VALU_DEP_2) | instskip(NEXT) | instid1(VALU_DEP_2)
	v_mul_u32_u24_e32 v1, 0xcccd, v1
	v_lshlrev_b32_e32 v0, 4, v0
	s_clause 0x8
	global_load_b128 v[84:87], v0, s[8:9]
	global_load_b128 v[88:91], v0, s[8:9] offset:16
	global_load_b128 v[96:99], v0, s[8:9] offset:32
	;; [unrolled: 1-line block ×8, first 2 shown]
	v_lshrrev_b32_e32 v187, 19, v1
	s_delay_alu instid0(VALU_DEP_1) | instskip(NEXT) | instid1(VALU_DEP_1)
	v_mul_lo_u16 v1, v187, 10
	v_sub_nc_u16 v1, v126, v1
	s_delay_alu instid0(VALU_DEP_1) | instskip(NEXT) | instid1(VALU_DEP_1)
	v_and_b32_e32 v188, 0xffff, v1
	v_mul_u32_u24_e32 v0, 9, v188
	s_delay_alu instid0(VALU_DEP_1)
	v_lshlrev_b32_e32 v32, 4, v0
	s_clause 0x8
	global_load_b128 v[0:3], v32, s[8:9]
	global_load_b128 v[4:7], v32, s[8:9] offset:16
	global_load_b128 v[8:11], v32, s[8:9] offset:32
	;; [unrolled: 1-line block ×8, first 2 shown]
	ds_load_b128 v[100:103], v184
	ds_load_b128 v[108:111], v181 offset:11520
	ds_load_b128 v[112:115], v181 offset:17280
	;; [unrolled: 1-line block ×13, first 2 shown]
	s_wait_loadcnt_dscnt 0x1a0d
	v_mul_f64_e32 v[104:105], v[102:103], v[50:51]
	v_mul_f64_e32 v[50:51], v[100:101], v[50:51]
	s_wait_loadcnt_dscnt 0x190c
	v_mul_f64_e32 v[135:136], v[110:111], v[70:71]
	s_wait_loadcnt_dscnt 0x180b
	v_mul_f64_e32 v[141:142], v[114:115], v[66:67]
	v_mul_f64_e32 v[66:67], v[112:113], v[66:67]
	;; [unrolled: 1-line block ×3, first 2 shown]
	s_wait_loadcnt_dscnt 0x170a
	v_mul_f64_e32 v[143:144], v[129:130], v[58:59]
	v_mul_f64_e32 v[58:59], v[127:128], v[58:59]
	s_wait_loadcnt_dscnt 0x1608
	v_mul_f64_e32 v[145:146], v[133:134], v[62:63]
	v_mul_f64_e32 v[62:63], v[131:132], v[62:63]
	;; [unrolled: 3-line block ×4, first 2 shown]
	s_wait_loadcnt_dscnt 0x1301
	v_mul_f64_e32 v[223:224], v[199:200], v[78:79]
	v_fma_f64 v[104:105], v[100:101], v[48:49], -v[104:105]
	v_fma_f64 v[106:107], v[102:103], v[48:49], v[50:51]
	ds_load_b128 v[205:208], v181 offset:51840
	ds_load_b128 v[48:51], v181 offset:38400
	v_fma_f64 v[100:101], v[108:109], v[68:69], -v[135:136]
	v_fma_f64 v[108:109], v[112:113], v[64:65], -v[141:142]
	v_fma_f64 v[82:83], v[114:115], v[64:65], v[66:67]
	v_mul_f64_e32 v[64:65], v[197:198], v[78:79]
	v_fma_f64 v[102:103], v[110:111], v[68:69], v[70:71]
	ds_load_b128 v[209:212], v181 offset:48000
	ds_load_b128 v[68:71], v181 offset:7680
	v_fma_f64 v[112:113], v[127:128], v[56:57], -v[143:144]
	v_fma_f64 v[110:111], v[129:130], v[56:57], v[58:59]
	ds_load_b128 v[56:59], v181 offset:49920
	ds_load_b128 v[213:216], v181 offset:13440
	ds_load_b128 v[217:220], v181 offset:24960
	v_fma_f64 v[147:148], v[131:132], v[60:61], -v[145:146]
	v_fma_f64 v[145:146], v[133:134], v[60:61], v[62:63]
	v_fma_f64 v[143:144], v[159:160], v[52:53], -v[153:154]
	v_fma_f64 v[141:142], v[161:162], v[52:53], v[54:55]
	;; [unrolled: 2-line block ×3, first 2 shown]
	s_wait_loadcnt 0xf
	v_mul_f64_e32 v[159:160], v[139:140], v[98:99]
	s_wait_dscnt 0x6
	v_mul_f64_e32 v[78:79], v[207:208], v[74:75]
	v_mul_f64_e32 v[74:75], v[205:206], v[74:75]
	;; [unrolled: 1-line block ×3, first 2 shown]
	v_fma_f64 v[127:128], v[197:198], v[76:77], -v[223:224]
	s_wait_loadcnt 0xc
	v_mul_f64_e32 v[221:222], v[203:204], v[157:158]
	v_mul_f64_e32 v[157:158], v[201:202], v[157:158]
	ds_load_b128 v[52:55], v181
	ds_load_b128 v[60:63], v181 offset:15360
	s_wait_dscnt 0x5
	v_mul_f64_e32 v[129:130], v[70:71], v[86:87]
	v_mul_f64_e32 v[153:154], v[68:69], v[86:87]
	s_wait_loadcnt 0x8
	v_mul_f64_e32 v[173:174], v[46:47], v[2:3]
	s_wait_dscnt 0x3
	v_mul_f64_e32 v[80:81], v[215:216], v[90:91]
	v_mul_f64_e32 v[90:91], v[213:214], v[90:91]
	s_wait_dscnt 0x2
	v_mul_f64_e32 v[167:168], v[219:220], v[94:95]
	v_mul_f64_e32 v[175:176], v[44:45], v[2:3]
	v_fma_f64 v[114:115], v[199:200], v[76:77], v[64:65]
	ds_load_b128 v[197:200], v181 offset:42240
	ds_load_b128 v[64:67], v181 offset:26880
	v_fma_f64 v[98:99], v[205:206], v[72:73], -v[78:79]
	v_fma_f64 v[86:87], v[207:208], v[72:73], v[74:75]
	v_mul_f64_e32 v[72:73], v[217:218], v[94:95]
	ds_load_b128 v[205:208], v181 offset:53760
	v_mul_f64_e32 v[78:79], v[195:196], v[151:152]
	v_fma_f64 v[94:95], v[137:138], v[96:97], -v[159:160]
	s_wait_loadcnt_dscnt 0x501
	v_mul_f64_e32 v[159:160], v[64:65], v[14:15]
	v_fma_f64 v[131:132], v[68:69], v[84:85], -v[129:130]
	v_fma_f64 v[129:130], v[70:71], v[84:85], v[153:154]
	v_mul_f64_e32 v[84:85], v[193:194], v[151:152]
	v_fma_f64 v[76:77], v[213:214], v[88:89], -v[80:81]
	v_fma_f64 v[88:89], v[215:216], v[88:89], v[90:91]
	ds_load_b128 v[68:71], v181 offset:44160
	v_mul_f64_e32 v[213:214], v[199:200], v[165:166]
	v_mul_f64_e32 v[165:166], v[197:198], v[165:166]
	;; [unrolled: 1-line block ×4, first 2 shown]
	v_fma_f64 v[80:81], v[217:218], v[92:93], -v[167:168]
	v_fma_f64 v[90:91], v[139:140], v[96:97], v[161:162]
	v_mul_f64_e32 v[151:152], v[60:61], v[6:7]
	v_mul_f64_e32 v[153:154], v[42:43], v[10:11]
	s_wait_loadcnt 0x4
	v_mul_f64_e32 v[161:162], v[38:39], v[18:19]
	v_mul_f64_e32 v[167:168], v[36:37], v[18:19]
	v_fma_f64 v[92:93], v[219:220], v[92:93], v[72:73]
	ds_load_b128 v[72:75], v181 offset:55680
	s_wait_dscnt 0x2
	v_mul_f64_e32 v[217:218], v[207:208], v[191:192]
	v_mul_f64_e32 v[191:192], v[205:206], v[191:192]
	v_fma_f64 v[137:138], v[193:194], v[149:150], -v[78:79]
	v_fma_f64 v[78:79], v[201:202], v[155:156], -v[221:222]
	v_add_f64_e32 v[193:194], v[54:55], v[102:103]
	v_add_f64_e64 v[201:202], v[145:146], -v[133:134]
	v_fma_f64 v[96:97], v[195:196], v[149:150], v[84:85]
	v_mul_f64_e32 v[149:150], v[62:63], v[6:7]
	v_fma_f64 v[84:85], v[203:204], v[155:156], v[157:158]
	v_mul_f64_e32 v[155:156], v[40:41], v[10:11]
	v_mul_f64_e32 v[157:158], v[66:67], v[14:15]
	v_fma_f64 v[139:140], v[197:198], v[163:164], -v[213:214]
	v_fma_f64 v[10:11], v[199:200], v[163:164], v[165:166]
	s_wait_loadcnt 0x3
	v_mul_f64_e32 v[163:164], v[50:51], v[22:23]
	v_mul_f64_e32 v[22:23], v[48:49], v[22:23]
	s_wait_loadcnt_dscnt 0x201
	v_mul_f64_e32 v[165:166], v[70:71], v[26:27]
	v_fma_f64 v[2:3], v[209:210], v[169:170], -v[215:216]
	v_fma_f64 v[14:15], v[211:212], v[169:170], v[171:172]
	v_mul_f64_e32 v[169:170], v[68:69], v[26:27]
	s_wait_loadcnt 0x1
	v_mul_f64_e32 v[171:172], v[58:59], v[30:31]
	v_mul_f64_e32 v[30:31], v[56:57], v[30:31]
	s_wait_loadcnt_dscnt 0x0
	v_mul_f64_e32 v[26:27], v[74:75], v[34:35]
	v_mul_f64_e32 v[34:35], v[72:73], v[34:35]
	v_fma_f64 v[195:196], v[46:47], v[0:1], v[175:176]
	v_fma_f64 v[62:63], v[62:63], v[4:5], v[151:152]
	v_fma_f64 v[40:41], v[40:41], v[8:9], -v[153:154]
	v_fma_f64 v[66:67], v[66:67], v[12:13], v[159:160]
	v_fma_f64 v[38:39], v[38:39], v[16:17], v[167:168]
	v_add_f64_e32 v[151:152], v[104:105], v[108:109]
	v_add_f64_e64 v[153:154], v[112:113], -v[143:144]
	v_add_f64_e64 v[159:160], v[110:111], -v[102:103]
	;; [unrolled: 1-line block ×5, first 2 shown]
	v_add_f64_e32 v[209:210], v[131:132], v[94:95]
	v_fma_f64 v[18:19], v[205:206], v[189:190], -v[217:218]
	v_fma_f64 v[6:7], v[207:208], v[189:190], v[191:192]
	v_add_f64_e32 v[189:190], v[52:53], v[100:101]
	v_fma_f64 v[191:192], v[44:45], v[0:1], -v[173:174]
	ds_load_b128 v[44:47], v119
	ds_load_b128 v[173:176], v185
	v_add_f64_e64 v[205:206], v[133:134], -v[86:87]
	global_wb scope:SCOPE_SE
	s_wait_dscnt 0x0
	v_fma_f64 v[60:61], v[60:61], v[4:5], -v[149:150]
	v_fma_f64 v[149:150], v[36:37], v[16:17], -v[161:162]
	v_fma_f64 v[42:43], v[42:43], v[8:9], v[155:156]
	v_fma_f64 v[64:65], v[64:65], v[12:13], -v[157:158]
	v_add_f64_e32 v[157:158], v[193:194], v[110:111]
	v_add_f64_e64 v[155:156], v[143:144], -v[127:128]
	v_fma_f64 v[16:17], v[48:49], v[20:21], -v[163:164]
	v_fma_f64 v[22:23], v[50:51], v[20:21], v[22:23]
	v_fma_f64 v[36:37], v[68:69], v[24:25], -v[165:166]
	v_add_f64_e32 v[48:49], v[106:107], v[82:83]
	v_add_f64_e32 v[68:69], v[147:148], v[135:136]
	v_fma_f64 v[20:21], v[70:71], v[24:25], v[169:170]
	v_fma_f64 v[0:1], v[56:57], v[28:29], -v[171:172]
	v_fma_f64 v[8:9], v[58:59], v[28:29], v[30:31]
	v_add_f64_e32 v[24:25], v[100:101], v[127:128]
	v_fma_f64 v[12:13], v[72:73], v[32:33], -v[26:27]
	v_fma_f64 v[4:5], v[74:75], v[32:33], v[34:35]
	v_add_f64_e32 v[26:27], v[112:113], v[143:144]
	v_add_f64_e32 v[28:29], v[145:146], v[133:134]
	;; [unrolled: 1-line block ×4, first 2 shown]
	v_add_f64_e64 v[34:35], v[100:101], -v[112:113]
	v_add_f64_e32 v[70:71], v[82:83], v[86:87]
	v_add_f64_e64 v[72:73], v[112:113], -v[100:101]
	v_add_f64_e32 v[74:75], v[108:109], v[98:99]
	v_add_f64_e64 v[50:51], v[127:128], -v[143:144]
	v_add_f64_e64 v[56:57], v[102:103], -v[110:111]
	;; [unrolled: 1-line block ×5, first 2 shown]
	v_add_f64_e32 v[163:164], v[80:81], v[78:79]
	v_add_f64_e32 v[165:166], v[76:77], v[2:3]
	v_add_f64_e64 v[171:172], v[108:109], -v[147:148]
	v_add_f64_e32 v[112:113], v[189:190], v[112:113]
	v_add_f64_e64 v[189:190], v[147:148], -v[135:136]
	v_add_f64_e64 v[193:194], v[147:148], -v[108:109]
	;; [unrolled: 1-line block ×3, first 2 shown]
	v_add_f64_e32 v[147:148], v[151:152], v[147:148]
	v_add_f64_e64 v[151:152], v[98:99], -v[135:136]
	v_add_f64_e32 v[207:208], v[46:47], v[88:89]
	v_add_f64_e32 v[167:168], v[92:93], v[84:85]
	;; [unrolled: 1-line block ×5, first 2 shown]
	v_add_f64_e64 v[100:101], v[100:101], -v[127:128]
	v_add_f64_e64 v[102:103], v[102:103], -v[114:115]
	s_barrier_signal -1
	v_add_f64_e32 v[48:49], v[48:49], v[145:146]
	v_add_f64_e64 v[145:146], v[145:146], -v[82:83]
	v_add_f64_e64 v[82:83], v[82:83], -v[86:87]
	v_fma_f64 v[68:69], v[68:69], -0.5, v[104:105]
	s_barrier_wait -1
	v_fma_f64 v[24:25], v[24:25], -0.5, v[52:53]
	global_inv scope:SCOPE_SE
	v_fma_f64 v[26:27], v[26:27], -0.5, v[52:53]
	v_fma_f64 v[28:29], v[28:29], -0.5, v[106:107]
	;; [unrolled: 1-line block ×4, first 2 shown]
	v_add_f64_e64 v[52:53], v[76:77], -v[80:81]
	v_add_f64_e64 v[54:55], v[2:3], -v[78:79]
	v_fma_f64 v[70:71], v[70:71], -0.5, v[106:107]
	v_add_f64_e32 v[106:107], v[137:138], v[139:140]
	v_fma_f64 v[74:75], v[74:75], -0.5, v[104:105]
	v_add_f64_e32 v[104:105], v[94:95], v[18:19]
	v_add_f64_e32 v[72:73], v[72:73], v[155:156]
	v_add_f64_e32 v[34:35], v[34:35], v[50:51]
	v_add_f64_e32 v[159:160], v[159:160], v[161:162]
	v_fma_f64 v[163:164], v[163:164], -0.5, v[44:45]
	v_fma_f64 v[165:166], v[165:166], -0.5, v[44:45]
	v_add_f64_e32 v[44:45], v[44:45], v[76:77]
	v_add_f64_e32 v[112:113], v[112:113], v[143:144]
	v_add_f64_e32 v[143:144], v[96:97], v[10:11]
	v_add_f64_e32 v[161:162], v[193:194], v[197:198]
	v_add_f64_e64 v[50:51], v[14:15], -v[84:85]
	v_add_f64_e32 v[135:136], v[147:148], v[135:136]
	v_add_f64_e32 v[151:152], v[171:172], v[151:152]
	;; [unrolled: 1-line block ×6, first 2 shown]
	v_fma_f64 v[167:168], v[167:168], -0.5, v[46:47]
	v_fma_f64 v[46:47], v[169:170], -0.5, v[46:47]
	v_add_f64_e64 v[169:170], v[88:89], -v[92:93]
	v_add_f64_e64 v[147:148], v[94:95], -v[137:138]
	v_add_f64_e32 v[48:49], v[48:49], v[133:134]
	v_add_f64_e64 v[133:134], v[90:91], -v[96:97]
	v_add_f64_e32 v[145:146], v[145:146], v[205:206]
	v_fma_f64 v[197:198], v[82:83], s[0:1], v[68:69]
	v_add_f64_e32 v[56:57], v[56:57], v[58:59]
	v_fma_f64 v[199:200], v[110:111], s[4:5], v[24:25]
	v_add_f64_e64 v[58:59], v[18:19], -v[139:140]
	v_fma_f64 v[24:25], v[110:111], s[0:1], v[24:25]
	v_add_f64_e32 v[114:115], v[141:142], v[114:115]
	v_fma_f64 v[203:204], v[108:109], s[4:5], v[28:29]
	v_fma_f64 v[141:142], v[102:103], s[0:1], v[26:27]
	;; [unrolled: 1-line block ×4, first 2 shown]
	v_add_f64_e32 v[211:212], v[52:53], v[54:55]
	v_fma_f64 v[205:206], v[189:190], s[0:1], v[70:71]
	v_fma_f64 v[52:53], v[106:107], -0.5, v[131:132]
	v_fma_f64 v[54:55], v[201:202], s[4:5], v[74:75]
	v_fma_f64 v[104:105], v[104:105], -0.5, v[131:132]
	v_add_f64_e64 v[106:107], v[6:7], -v[10:11]
	v_fma_f64 v[74:75], v[201:202], s[0:1], v[74:75]
	v_fma_f64 v[70:71], v[189:190], s[4:5], v[70:71]
	;; [unrolled: 1-line block ×5, first 2 shown]
	v_add_f64_e32 v[112:113], v[112:113], v[127:128]
	v_fma_f64 v[131:132], v[143:144], -0.5, v[129:130]
	v_fma_f64 v[129:130], v[157:158], -0.5, v[129:130]
	v_add_f64_e64 v[143:144], v[96:97], -v[10:11]
	v_add_f64_e64 v[127:128], v[137:138], -v[139:140]
	v_add_f64_e32 v[98:99], v[135:136], v[98:99]
	v_fma_f64 v[135:136], v[100:101], s[4:5], v[30:31]
	v_fma_f64 v[30:31], v[100:101], s[0:1], v[30:31]
	v_add_f64_e64 v[137:138], v[137:138], -v[94:95]
	v_add_f64_e64 v[94:95], v[94:95], -v[18:19]
	v_add_f64_e32 v[155:156], v[155:156], v[84:85]
	v_add_f64_e32 v[207:208], v[207:208], v[139:140]
	v_add_f64_e64 v[139:140], v[139:140], -v[18:19]
	v_add_f64_e32 v[44:45], v[44:45], v[80:81]
	v_add_f64_e32 v[48:49], v[48:49], v[86:87]
	v_add_f64_e64 v[86:87], v[88:89], -v[14:15]
	v_add_f64_e64 v[88:89], v[92:93], -v[88:89]
	v_fma_f64 v[197:198], v[201:202], s[10:11], v[197:198]
	v_add_f64_e64 v[92:93], v[92:93], -v[84:85]
	v_fma_f64 v[157:158], v[102:103], s[10:11], v[199:200]
	v_add_f64_e64 v[199:200], v[90:91], -v[6:7]
	v_add_f64_e64 v[90:91], v[96:97], -v[90:91]
	v_add_f64_e32 v[96:97], v[209:210], v[96:97]
	v_fma_f64 v[203:204], v[189:190], s[12:13], v[203:204]
	v_add_f64_e64 v[209:210], v[10:11], -v[6:7]
	v_fma_f64 v[102:103], v[102:103], s[12:13], v[24:25]
	v_fma_f64 v[193:194], v[100:101], s[12:13], v[193:194]
	v_add_f64_e32 v[169:170], v[169:170], v[50:51]
	v_fma_f64 v[205:206], v[108:109], s[12:13], v[205:206]
	v_add_f64_e64 v[50:51], v[80:81], -v[78:79]
	v_fma_f64 v[54:55], v[82:83], s[10:11], v[54:55]
	v_add_f64_e32 v[58:59], v[147:148], v[58:59]
	v_fma_f64 v[32:33], v[100:101], s[10:11], v[32:33]
	v_fma_f64 v[74:75], v[82:83], s[12:13], v[74:75]
	v_add_f64_e32 v[82:83], v[133:134], v[106:107]
	v_fma_f64 v[70:71], v[108:109], s[10:11], v[70:71]
	v_fma_f64 v[68:69], v[201:202], s[12:13], v[68:69]
	;; [unrolled: 1-line block ×5, first 2 shown]
	v_add_f64_e32 v[147:148], v[149:150], v[36:37]
	v_fma_f64 v[106:107], v[143:144], s[4:5], v[104:105]
	v_fma_f64 v[133:134], v[127:128], s[0:1], v[129:130]
	;; [unrolled: 1-line block ×6, first 2 shown]
	v_add_f64_e32 v[24:25], v[112:113], v[98:99]
	v_add_f64_e64 v[28:29], v[112:113], -v[98:99]
	v_add_f64_e32 v[112:113], v[155:156], v[14:15]
	v_add_f64_e32 v[153:154], v[38:39], v[20:21]
	v_add_f64_e32 v[44:45], v[44:45], v[78:79]
	v_add_f64_e32 v[26:27], v[114:115], v[48:49]
	v_add_f64_e64 v[30:31], v[114:115], -v[48:49]
	v_add_f64_e64 v[48:49], v[84:85], -v[14:15]
	v_add_f64_e32 v[114:115], v[207:208], v[18:19]
	v_fma_f64 v[155:156], v[151:152], s[14:15], v[197:198]
	v_fma_f64 v[18:19], v[72:73], s[14:15], v[157:158]
	v_add_f64_e64 v[80:81], v[80:81], -v[76:77]
	v_add_f64_e32 v[189:190], v[40:41], v[12:13]
	v_add_f64_e32 v[10:11], v[96:97], v[10:11]
	v_fma_f64 v[14:15], v[171:172], s[14:15], v[203:204]
	v_add_f64_e32 v[96:97], v[42:43], v[4:5]
	v_add_f64_e64 v[78:79], v[78:79], -v[2:3]
	v_add_f64_e32 v[137:138], v[137:138], v[139:140]
	v_add_f64_e32 v[90:91], v[90:91], v[209:210]
	v_fma_f64 v[157:158], v[145:146], s[14:15], v[205:206]
	v_fma_f64 v[84:85], v[94:95], s[4:5], v[131:132]
	;; [unrolled: 1-line block ×11, first 2 shown]
	v_add_f64_e64 v[32:33], v[76:77], -v[2:3]
	v_fma_f64 v[76:77], v[50:51], s[0:1], v[46:47]
	v_fma_f64 v[106:107], v[199:200], s[10:11], v[106:107]
	;; [unrolled: 1-line block ×14, first 2 shown]
	v_fma_f64 v[56:57], v[147:148], -0.5, v[191:192]
	v_fma_f64 v[141:142], v[153:154], -0.5, v[195:196]
	v_add_f64_e64 v[147:148], v[40:41], -v[12:13]
	v_add_f64_e64 v[151:152], v[42:43], -v[4:5]
	v_mul_f64_e32 v[153:154], s[12:13], v[155:156]
	v_fma_f64 v[165:166], v[189:190], -0.5, v[191:192]
	v_add_f64_e32 v[6:7], v[10:11], v[6:7]
	v_mul_f64_e32 v[131:132], s[10:11], v[14:15]
	v_add_f64_e32 v[10:11], v[44:45], v[2:3]
	v_add_f64_e64 v[2:3], v[149:150], -v[36:37]
	v_add_f64_e64 v[44:45], v[38:39], -v[20:21]
	v_fma_f64 v[96:97], v[96:97], -0.5, v[195:196]
	v_mul_f64_e32 v[161:162], s[0:1], v[157:158]
	v_add_f64_e32 v[78:79], v[80:81], v[78:79]
	v_mul_f64_e32 v[80:81], s[4:5], v[54:55]
	v_add_f64_e32 v[48:49], v[88:89], v[48:49]
	v_fma_f64 v[84:85], v[127:128], s[12:13], v[84:85]
	v_mul_f64_e32 v[171:172], s[14:15], v[74:75]
	v_fma_f64 v[98:99], v[143:144], s[10:11], v[98:99]
	v_add_f64_e64 v[189:190], v[4:5], -v[20:21]
	v_add_f64_e64 v[199:200], v[38:39], -v[42:43]
	;; [unrolled: 1-line block ×3, first 2 shown]
	v_add_f64_e32 v[207:208], v[60:61], v[0:1]
	v_fma_f64 v[76:77], v[32:33], s[12:13], v[76:77]
	v_fma_f64 v[88:89], v[137:138], s[14:15], v[106:107]
	;; [unrolled: 1-line block ×3, first 2 shown]
	v_mul_f64_e32 v[133:134], s[14:15], v[70:71]
	v_fma_f64 v[104:105], v[137:138], s[14:15], v[104:105]
	v_fma_f64 v[90:91], v[90:91], s[14:15], v[129:130]
	;; [unrolled: 1-line block ×10, first 2 shown]
	v_add_f64_e64 v[167:168], v[42:43], -v[38:39]
	v_fma_f64 v[34:35], v[143:144], s[12:13], v[34:35]
	v_fma_f64 v[193:194], v[147:148], s[4:5], v[141:142]
	;; [unrolled: 1-line block ×4, first 2 shown]
	v_add_f64_e64 v[153:154], v[149:150], -v[40:41]
	v_fma_f64 v[56:57], v[151:152], s[4:5], v[56:57]
	v_fma_f64 v[127:128], v[155:156], s[16:17], v[131:132]
	v_add_f64_e64 v[131:132], v[40:41], -v[149:150]
	v_add_f64_e64 v[155:156], v[12:13], -v[36:37]
	v_fma_f64 v[205:206], v[44:45], s[4:5], v[165:166]
	v_fma_f64 v[203:204], v[2:3], s[0:1], v[96:97]
	;; [unrolled: 1-line block ×3, first 2 shown]
	v_add_f64_e64 v[161:162], v[36:37], -v[12:13]
	v_fma_f64 v[80:81], v[157:158], s[14:15], v[80:81]
	v_add_f64_e32 v[157:158], v[64:65], v[16:17]
	v_fma_f64 v[165:166], v[44:45], s[0:1], v[165:166]
	v_fma_f64 v[70:71], v[70:71], s[0:1], -v[171:172]
	v_add_f64_e32 v[171:172], v[66:67], v[22:23]
	v_fma_f64 v[96:97], v[2:3], s[4:5], v[96:97]
	v_fma_f64 v[141:142], v[147:148], s[0:1], v[141:142]
	v_add_f64_e32 v[40:41], v[191:192], v[40:41]
	v_add_f64_e32 v[191:192], v[173:174], v[60:61]
	v_mul_f64_e32 v[163:164], s[16:17], v[68:69]
	v_mul_f64_e32 v[143:144], s[16:17], v[52:53]
	v_fma_f64 v[84:85], v[82:83], s[14:15], v[84:85]
	v_fma_f64 v[98:99], v[58:59], s[14:15], v[98:99]
	v_fma_f64 v[74:75], v[74:75], s[4:5], -v[133:134]
	v_add_f64_e32 v[133:134], v[62:63], v[8:9]
	v_add_f64_e32 v[42:43], v[195:196], v[42:43]
	v_fma_f64 v[129:130], v[78:79], s[14:15], v[129:130]
	v_fma_f64 v[78:79], v[78:79], s[14:15], v[137:138]
	;; [unrolled: 1-line block ×4, first 2 shown]
	v_mul_f64_e32 v[137:138], s[14:15], v[90:91]
	v_fma_f64 v[145:146], v[50:51], s[12:13], v[145:146]
	v_fma_f64 v[76:77], v[48:49], s[14:15], v[76:77]
	;; [unrolled: 1-line block ×3, first 2 shown]
	v_mul_f64_e32 v[94:95], s[4:5], v[88:89]
	v_fma_f64 v[58:59], v[58:59], s[14:15], v[34:35]
	v_mul_f64_e32 v[34:35], s[0:1], v[106:107]
	v_add_f64_e32 v[131:132], v[131:132], v[155:156]
	v_add_f64_e32 v[155:156], v[167:168], v[189:190]
	v_fma_f64 v[167:168], v[2:3], s[12:13], v[193:194]
	v_fma_f64 v[189:190], v[44:45], s[10:11], v[197:198]
	v_add_f64_e32 v[193:194], v[175:176], v[62:63]
	v_add_f64_e32 v[153:154], v[153:154], v[161:162]
	;; [unrolled: 1-line block ×3, first 2 shown]
	v_fma_f64 v[195:196], v[147:148], s[12:13], v[203:204]
	v_fma_f64 v[197:198], v[151:152], s[10:11], v[205:206]
	v_fma_f64 v[199:200], v[207:208], -0.5, v[173:174]
	v_add_f64_e64 v[201:202], v[66:67], -v[22:23]
	v_fma_f64 v[92:93], v[157:158], -0.5, v[173:174]
	v_fma_f64 v[157:158], v[171:172], -0.5, v[175:176]
	v_add_f64_e64 v[171:172], v[62:63], -v[8:9]
	v_add_f64_e64 v[173:174], v[60:61], -v[0:1]
	v_fma_f64 v[203:204], v[50:51], s[10:11], v[32:33]
	v_fma_f64 v[32:33], v[151:152], s[12:13], v[165:166]
	;; [unrolled: 1-line block ×4, first 2 shown]
	v_fma_f64 v[133:134], v[133:134], -0.5, v[175:176]
	v_add_f64_e64 v[175:176], v[64:65], -v[16:17]
	v_fma_f64 v[2:3], v[2:3], s[10:11], v[141:142]
	v_add_f64_e32 v[149:150], v[40:41], v[149:150]
	v_add_f64_e32 v[191:192], v[191:192], v[64:65]
	v_fma_f64 v[163:164], v[52:53], s[10:11], -v[163:164]
	v_fma_f64 v[68:69], v[68:69], s[12:13], -v[143:144]
	v_mul_f64_e32 v[52:53], s[10:11], v[84:85]
	v_mul_f64_e32 v[143:144], s[12:13], v[98:99]
	;; [unrolled: 1-line block ×3, first 2 shown]
	v_fma_f64 v[94:95], v[106:107], s[14:15], v[94:95]
	v_add_f64_e64 v[106:107], v[60:61], -v[64:65]
	v_add_f64_e64 v[60:61], v[64:65], -v[60:61]
	v_add_f64_e64 v[205:206], v[62:63], -v[66:67]
	v_add_f64_e64 v[207:208], v[8:9], -v[22:23]
	v_add_f64_e64 v[62:63], v[66:67], -v[62:63]
	v_fma_f64 v[141:142], v[48:49], s[14:15], v[46:47]
	v_mul_f64_e32 v[147:148], s[16:17], v[58:59]
	v_add_f64_e64 v[46:47], v[18:19], -v[54:55]
	v_add_f64_e64 v[48:49], v[102:103], -v[80:81]
	v_fma_f64 v[88:89], v[88:89], s[14:15], v[34:35]
	v_fma_f64 v[151:152], v[155:156], s[14:15], v[167:168]
	;; [unrolled: 1-line block ×3, first 2 shown]
	v_add_f64_e32 v[56:57], v[193:194], v[66:67]
	v_add_f64_e64 v[167:168], v[0:1], -v[16:17]
	v_add_f64_e64 v[66:67], v[22:23], -v[8:9]
	v_fma_f64 v[64:65], v[161:162], s[14:15], v[195:196]
	v_fma_f64 v[193:194], v[153:154], s[14:15], v[197:198]
	v_add_f64_e64 v[195:196], v[16:17], -v[0:1]
	v_fma_f64 v[197:198], v[201:202], s[4:5], v[199:200]
	v_fma_f64 v[199:200], v[201:202], s[0:1], v[199:200]
	v_add_f64_e32 v[189:190], v[42:43], v[38:39]
	v_fma_f64 v[209:210], v[171:172], s[0:1], v[92:93]
	v_fma_f64 v[213:214], v[173:174], s[4:5], v[157:158]
	;; [unrolled: 1-line block ×10, first 2 shown]
	v_add_f64_e32 v[42:43], v[18:19], v[54:55]
	v_add_f64_e32 v[50:51], v[72:73], v[70:71]
	v_add_f64_e32 v[36:37], v[149:150], v[36:37]
	v_add_f64_e64 v[54:55], v[72:73], -v[70:71]
	v_add_f64_e32 v[72:73], v[191:192], v[16:17]
	v_fma_f64 v[98:99], v[98:99], s[16:17], v[52:53]
	v_fma_f64 v[84:85], v[84:85], s[16:17], v[143:144]
	v_mul_f64_e32 v[143:144], s[16:17], v[82:83]
	v_fma_f64 v[90:91], v[90:91], s[0:1], -v[96:97]
	v_add_f64_e32 v[32:33], v[100:101], v[127:128]
	v_add_f64_e64 v[38:39], v[100:101], -v[127:128]
	v_add_f64_e32 v[44:45], v[102:103], v[80:81]
	v_add_f64_e32 v[52:53], v[159:160], v[74:75]
	;; [unrolled: 1-line block ×4, first 2 shown]
	v_add_f64_e64 v[40:41], v[110:111], -v[14:15]
	v_add_f64_e32 v[14:15], v[108:109], v[163:164]
	v_mul_f64_e32 v[80:81], s[10:11], v[151:152]
	v_mul_f64_e32 v[96:97], s[12:13], v[165:166]
	v_add_f64_e32 v[22:23], v[56:57], v[22:23]
	v_add_f64_e64 v[56:57], v[159:160], -v[74:75]
	v_add_f64_e32 v[106:107], v[106:107], v[167:168]
	v_mul_f64_e32 v[74:75], s[0:1], v[64:65]
	v_mul_f64_e32 v[100:101], s[4:5], v[193:194]
	v_add_f64_e32 v[60:61], v[60:61], v[195:196]
	v_fma_f64 v[102:103], v[171:172], s[10:11], v[197:198]
	v_add_f64_e32 v[62:63], v[62:63], v[66:67]
	v_fma_f64 v[110:111], v[171:172], s[12:13], v[199:200]
	v_fma_f64 v[149:150], v[201:202], s[10:11], v[209:210]
	;; [unrolled: 1-line block ×3, first 2 shown]
	v_add_f64_e32 v[70:71], v[189:190], v[20:21]
	v_mul_f64_e32 v[159:160], s[14:15], v[153:154]
	v_mul_f64_e32 v[167:168], s[14:15], v[161:162]
	v_fma_f64 v[92:93], v[201:202], s[12:13], v[92:93]
	v_fma_f64 v[157:158], v[175:176], s[10:11], v[157:158]
	;; [unrolled: 1-line block ×4, first 2 shown]
	v_mul_f64_e32 v[171:172], s[16:17], v[131:132]
	v_mul_f64_e32 v[173:174], s[16:17], v[2:3]
	v_add_f64_e32 v[16:17], v[135:136], v[68:69]
	v_add_f64_e64 v[18:19], v[108:109], -v[163:164]
	v_add_f64_e64 v[20:21], v[135:136], -v[68:69]
	v_fma_f64 v[68:69], v[104:105], s[4:5], -v[137:138]
	v_fma_f64 v[104:105], v[211:212], s[14:15], v[139:140]
	v_fma_f64 v[108:109], v[169:170], s[14:15], v[145:146]
	;; [unrolled: 1-line block ×3, first 2 shown]
	v_fma_f64 v[82:83], v[82:83], s[10:11], -v[147:148]
	v_add_f64_e32 v[12:13], v[36:37], v[12:13]
	v_add_f64_e32 v[145:146], v[72:73], v[0:1]
	v_fma_f64 v[135:136], v[169:170], s[14:15], v[203:204]
	v_fma_f64 v[137:138], v[58:59], s[12:13], -v[143:144]
	v_and_b32_e32 v58, 0xffff, v178
	v_add_f64_e32 v[0:1], v[10:11], v[114:115]
	v_fma_f64 v[139:140], v[165:166], s[16:17], v[80:81]
	v_fma_f64 v[96:97], v[151:152], s[16:17], v[96:97]
	v_add_f64_e32 v[143:144], v[22:23], v[8:9]
	v_mul_u32_u24_e32 v8, 0x640, v58
	v_lshlrev_b32_e32 v9, 4, v179
	v_fma_f64 v[147:148], v[193:194], s[14:15], v[74:75]
	v_fma_f64 v[100:101], v[64:65], s[14:15], v[100:101]
	v_add_f64_e64 v[58:59], v[129:130], -v[88:89]
	v_fma_f64 v[102:103], v[60:61], s[14:15], v[102:103]
	v_add3_u32 v163, 0, v8, v9
	v_fma_f64 v[110:111], v[60:61], s[14:15], v[110:111]
	v_fma_f64 v[149:150], v[106:107], s[14:15], v[149:150]
	;; [unrolled: 1-line block ×3, first 2 shown]
	v_add_f64_e32 v[36:37], v[70:71], v[4:5]
	v_fma_f64 v[159:160], v[161:162], s[0:1], -v[159:160]
	v_fma_f64 v[153:154], v[153:154], s[4:5], -v[167:168]
	v_fma_f64 v[161:162], v[106:107], s[14:15], v[92:93]
	v_fma_f64 v[127:128], v[127:128], s[14:15], v[157:158]
	;; [unrolled: 1-line block ×4, first 2 shown]
	v_fma_f64 v[157:158], v[2:3], s[10:11], -v[171:172]
	v_fma_f64 v[131:132], v[131:132], s[12:13], -v[173:174]
	v_add_f64_e32 v[2:3], v[112:113], v[6:7]
	v_add_f64_e64 v[4:5], v[10:11], -v[114:115]
	v_add_f64_e32 v[62:63], v[78:79], v[90:91]
	v_add_f64_e64 v[66:67], v[78:79], -v[90:91]
	v_add_f64_e32 v[8:9], v[104:105], v[98:99]
	v_add_f64_e32 v[10:11], v[108:109], v[84:85]
	ds_store_b128 v163, v[24:27]
	ds_store_b128 v163, v[32:35] offset:160
	v_add_f64_e32 v[70:71], v[86:87], v[82:83]
	v_add_f64_e64 v[74:75], v[86:87], -v[82:83]
	v_add_f64_e32 v[78:79], v[145:146], v[12:13]
	v_add_f64_e64 v[82:83], v[145:146], -v[12:13]
	v_and_b32_e32 v12, 0xffff, v186
	v_add_f64_e64 v[22:23], v[104:105], -v[98:99]
	v_add_f64_e64 v[24:25], v[108:109], -v[84:85]
	v_add_f64_e32 v[32:33], v[129:130], v[88:89]
	v_add_f64_e32 v[34:35], v[76:77], v[94:95]
	v_add_f64_e64 v[60:61], v[76:77], -v[94:95]
	v_add_f64_e32 v[64:65], v[141:142], v[68:69]
	v_add_f64_e64 v[68:69], v[141:142], -v[68:69]
	;; [unrolled: 2-line block ×3, first 2 shown]
	v_add_f64_e64 v[76:77], v[135:136], -v[137:138]
	v_mul_u32_u24_e32 v12, 0x640, v12
	v_lshlrev_b32_e32 v13, 4, v180
	v_add_f64_e32 v[94:95], v[102:103], v[147:148]
	v_add_f64_e64 v[98:99], v[102:103], -v[147:148]
	ds_store_b128 v163, v[42:45] offset:320
	ds_store_b128 v163, v[50:53] offset:480
	;; [unrolled: 1-line block ×4, first 2 shown]
	v_add_f64_e64 v[90:91], v[149:150], -v[139:140]
	v_add_f64_e32 v[88:89], v[151:152], v[96:97]
	v_add_f64_e64 v[92:93], v[151:152], -v[96:97]
	v_add_f64_e32 v[102:103], v[110:111], v[159:160]
	v_add_f64_e32 v[80:81], v[143:144], v[36:37]
	v_add_f64_e64 v[110:111], v[110:111], -v[159:160]
	v_add_f64_e64 v[84:85], v[143:144], -v[36:37]
	v_add_f64_e32 v[96:97], v[155:156], v[100:101]
	v_add_f64_e64 v[100:101], v[155:156], -v[100:101]
	v_add_f64_e32 v[104:105], v[133:134], v[153:154]
	v_add_f64_e32 v[106:107], v[161:162], v[157:158]
	;; [unrolled: 1-line block ×3, first 2 shown]
	v_add_f64_e64 v[112:113], v[133:134], -v[153:154]
	v_add_f64_e32 v[86:87], v[149:150], v[139:140]
	v_add_f64_e64 v[129:130], v[161:162], -v[157:158]
	v_add_f64_e64 v[131:132], v[127:128], -v[131:132]
	v_add3_u32 v12, 0, v12, v13
	ds_store_b128 v163, v[38:41] offset:960
	ds_store_b128 v163, v[46:49] offset:1120
	;; [unrolled: 1-line block ×4, first 2 shown]
	ds_store_b128 v12, v[0:3]
	ds_store_b128 v12, v[8:11] offset:160
	v_add_nc_u32_e32 v2, 0xffffff9c, v116
	v_cmp_gt_u32_e64 s0, 0x64, v116
	v_mul_u32_u24_e32 v0, 0x640, v187
	v_dual_mov_b32 v128, 0 :: v_dual_lshlrev_b32 v1, 4, v188
	ds_store_b128 v12, v[32:35] offset:320
	ds_store_b128 v12, v[62:65] offset:480
	s_wait_alu 0xf1ff
	v_cndmask_b32_e64 v189, v2, v116, s0
	v_add3_u32 v3, 0, v0, v1
	ds_store_b128 v12, v[70:73] offset:640
	ds_store_b128 v12, v[4:7] offset:800
	;; [unrolled: 1-line block ×6, first 2 shown]
	ds_store_b128 v3, v[78:81]
	ds_store_b128 v3, v[86:89] offset:160
	v_mul_i32_i24_e32 v127, 5, v189
	ds_store_b128 v3, v[94:97] offset:320
	ds_store_b128 v3, v[102:105] offset:480
	;; [unrolled: 1-line block ×8, first 2 shown]
	global_wb scope:SCOPE_SE
	s_wait_dscnt 0x0
	s_barrier_signal -1
	v_lshlrev_b64_e32 v[0:1], 4, v[127:128]
	s_barrier_wait -1
	global_inv scope:SCOPE_SE
	v_mul_lo_u16 v2, v177, 41
	v_lshrrev_b16 v10, 2, v124
	v_lshl_add_u32 v186, v124, 4, 0
	v_add_co_u32 v0, s0, s8, v0
	s_wait_alu 0xf1ff
	v_add_co_ci_u32_e64 v1, s0, s9, v1, s0
	v_lshrrev_b16 v192, 12, v2
	v_cmp_lt_u32_e64 s0, 0x63, v116
	s_mov_b32 s4, 0xe8584caa
	s_clause 0x1
	global_load_b128 v[80:83], v[0:1], off offset:1440
	global_load_b128 v[76:79], v[0:1], off offset:1456
	v_mul_lo_u16 v2, 0x64, v192
	s_clause 0x2
	global_load_b128 v[72:75], v[0:1], off offset:1472
	global_load_b128 v[84:87], v[0:1], off offset:1488
	;; [unrolled: 1-line block ×3, first 2 shown]
	v_lshrrev_b16 v1, 2, v125
	v_sub_nc_u16 v2, v118, v2
	s_mov_b32 s5, 0x3febb67a
	s_mov_b32 s11, 0xbfebb67a
	s_wait_alu 0xfffe
	s_mov_b32 s10, s4
	s_mov_b32 s1, exec_lo
	v_and_b32_e32 v193, 0xff, v2
	v_lshrrev_b16 v2, 2, v126
	s_delay_alu instid0(VALU_DEP_2) | instskip(NEXT) | instid1(VALU_DEP_2)
	v_mul_u32_u24_e32 v3, 5, v193
	v_and_b32_e32 v2, 0xffff, v2
	s_delay_alu instid0(VALU_DEP_2) | instskip(NEXT) | instid1(VALU_DEP_2)
	v_lshlrev_b32_e32 v3, 4, v3
	v_mul_u32_u24_e32 v0, 0x147b, v2
	s_clause 0x3
	global_load_b128 v[104:107], v3, s[8:9] offset:1440
	global_load_b128 v[143:146], v3, s[8:9] offset:1456
	;; [unrolled: 1-line block ×4, first 2 shown]
	v_lshrrev_b32_e32 v127, 17, v0
	global_load_b128 v[195:198], v3, s[8:9] offset:1504
	v_mul_lo_u16 v0, 0x64, v127
	s_delay_alu instid0(VALU_DEP_1) | instskip(NEXT) | instid1(VALU_DEP_1)
	v_sub_nc_u16 v0, v126, v0
	v_and_b32_e32 v188, 0xffff, v0
	v_and_b32_e32 v0, 0xffff, v1
	s_delay_alu instid0(VALU_DEP_2) | instskip(NEXT) | instid1(VALU_DEP_2)
	v_mul_u32_u24_e32 v1, 5, v188
	v_mul_u32_u24_e32 v0, 0x147b, v0
	s_delay_alu instid0(VALU_DEP_2) | instskip(NEXT) | instid1(VALU_DEP_2)
	v_lshlrev_b32_e32 v8, 4, v1
	v_lshrrev_b32_e32 v187, 17, v0
	global_load_b128 v[4:7], v8, s[8:9] offset:1440
	v_mul_lo_u16 v9, 0x64, v187
	s_clause 0x3
	global_load_b128 v[0:3], v8, s[8:9] offset:1456
	global_load_b128 v[56:59], v8, s[8:9] offset:1472
	;; [unrolled: 1-line block ×4, first 2 shown]
	v_sub_nc_u16 v9, v125, v9
	s_delay_alu instid0(VALU_DEP_1) | instskip(SKIP_1) | instid1(VALU_DEP_2)
	v_and_b32_e32 v194, 0xffff, v9
	v_and_b32_e32 v9, 0xffff, v10
	v_mul_u32_u24_e32 v10, 5, v194
	s_delay_alu instid0(VALU_DEP_2) | instskip(NEXT) | instid1(VALU_DEP_2)
	v_mul_u32_u24_e32 v9, 0x147b, v9
	v_lshlrev_b32_e32 v12, 4, v10
	s_delay_alu instid0(VALU_DEP_2)
	v_lshrrev_b32_e32 v190, 17, v9
	global_load_b128 v[44:47], v12, s[8:9] offset:1440
	v_mul_lo_u16 v8, 0x64, v190
	s_clause 0x1
	global_load_b128 v[20:23], v12, s[8:9] offset:1456
	global_load_b128 v[16:19], v12, s[8:9] offset:1472
	v_sub_nc_u16 v8, v124, v8
	s_delay_alu instid0(VALU_DEP_1) | instskip(SKIP_2) | instid1(VALU_DEP_1)
	v_and_b32_e32 v191, 0xffff, v8
	global_load_b128 v[8:11], v12, s[8:9] offset:1488
	v_mul_u32_u24_e32 v13, 5, v191
	v_lshlrev_b32_e32 v40, 4, v13
	s_clause 0x5
	global_load_b128 v[12:15], v12, s[8:9] offset:1504
	global_load_b128 v[24:27], v40, s[8:9] offset:1440
	global_load_b128 v[28:31], v40, s[8:9] offset:1456
	global_load_b128 v[32:35], v40, s[8:9] offset:1488
	global_load_b128 v[36:39], v40, s[8:9] offset:1472
	global_load_b128 v[40:43], v40, s[8:9] offset:1504
	ds_load_b128 v[92:95], v181 offset:9600
	ds_load_b128 v[108:111], v181 offset:19200
	;; [unrolled: 1-line block ×4, first 2 shown]
	ds_load_b128 v[60:63], v181
	ds_load_b128 v[161:164], v181 offset:48000
	ds_load_b128 v[165:168], v181 offset:21120
	;; [unrolled: 1-line block ×9, first 2 shown]
	s_wait_loadcnt_dscnt 0x180d
	v_mul_f64_e32 v[96:97], v[94:95], v[82:83]
	v_mul_f64_e32 v[82:83], v[92:93], v[82:83]
	s_wait_loadcnt_dscnt 0x170c
	v_mul_f64_e32 v[112:113], v[110:111], v[78:79]
	v_mul_f64_e32 v[78:79], v[108:109], v[78:79]
	;; [unrolled: 3-line block ×6, first 2 shown]
	s_wait_loadcnt 0x12
	v_mul_f64_e32 v[213:214], v[167:168], v[145:146]
	v_mul_f64_e32 v[215:216], v[165:166], v[145:146]
	s_wait_loadcnt_dscnt 0x1004
	v_mul_f64_e32 v[217:218], v[201:202], v[159:160]
	v_mul_f64_e32 v[159:160], v[199:200], v[159:160]
	v_fma_f64 v[137:138], v[92:93], v[80:81], -v[96:97]
	v_fma_f64 v[139:140], v[94:95], v[80:81], v[82:83]
	ds_load_b128 v[92:95], v181 offset:51840
	s_wait_dscnt 0x4
	v_mul_f64_e32 v[80:81], v[205:206], v[149:150]
	v_mul_f64_e32 v[82:83], v[203:204], v[149:150]
	v_fma_f64 v[135:136], v[108:109], v[76:77], -v[112:113]
	ds_load_b128 v[112:115], v181 offset:23040
	ds_load_b128 v[96:99], v181 offset:32640
	v_fma_f64 v[133:134], v[110:111], v[76:77], v[78:79]
	ds_load_b128 v[76:79], v181 offset:24960
	v_fma_f64 v[149:150], v[129:130], v[72:73], -v[141:142]
	v_fma_f64 v[151:152], v[131:132], v[72:73], v[74:75]
	v_fma_f64 v[141:142], v[153:154], v[84:85], -v[173:174]
	v_fma_f64 v[129:130], v[155:156], v[84:85], v[86:87]
	ds_load_b128 v[108:111], v181 offset:42240
	ds_load_b128 v[72:75], v181 offset:44160
	v_fma_f64 v[131:132], v[161:162], v[88:89], -v[175:176]
	s_wait_loadcnt_dscnt 0xf06
	v_mul_f64_e32 v[219:220], v[209:210], v[197:198]
	v_mul_f64_e32 v[197:198], v[207:208], v[197:198]
	ds_load_b128 v[84:87], v181 offset:34560
	v_fma_f64 v[145:146], v[169:170], v[104:105], -v[211:212]
	v_fma_f64 v[153:154], v[171:172], v[104:105], v[106:107]
	ds_load_b128 v[104:107], v181 offset:15360
	s_wait_loadcnt 0xe
	v_mul_f64_e32 v[177:178], v[102:103], v[6:7]
	v_mul_f64_e32 v[179:180], v[100:101], v[6:7]
	s_wait_loadcnt_dscnt 0xc05
	v_mul_f64_e32 v[169:170], v[98:99], v[58:59]
	v_mul_f64_e32 v[171:172], v[96:97], v[58:59]
	v_fma_f64 v[6:7], v[163:164], v[88:89], v[90:91]
	v_fma_f64 v[58:59], v[165:166], v[143:144], -v[213:214]
	v_fma_f64 v[143:144], v[167:168], v[143:144], v[215:216]
	s_wait_loadcnt_dscnt 0xb03
	v_mul_f64_e32 v[165:166], v[110:111], v[54:55]
	v_mul_f64_e32 v[167:168], v[108:109], v[54:55]
	s_wait_loadcnt 0xa
	v_mul_f64_e32 v[161:162], v[94:95], v[50:51]
	v_mul_f64_e32 v[163:164], v[92:93], v[50:51]
	v_fma_f64 v[155:156], v[203:204], v[147:148], -v[80:81]
	v_fma_f64 v[147:148], v[205:206], v[147:148], v[82:83]
	ds_load_b128 v[80:83], v181 offset:17280
	v_mul_f64_e32 v[173:174], v[114:115], v[2:3]
	v_mul_f64_e32 v[175:176], v[112:113], v[2:3]
	v_fma_f64 v[2:3], v[199:200], v[157:158], -v[217:218]
	v_fma_f64 v[50:51], v[201:202], v[157:158], v[159:160]
	ds_load_b128 v[88:91], v181 offset:53760
	s_wait_loadcnt_dscnt 0x902
	v_mul_f64_e32 v[157:158], v[106:107], v[46:47]
	v_mul_f64_e32 v[159:160], v[104:105], v[46:47]
	v_cndmask_b32_e64 v199, 0, 0x2580, s0
	v_fma_f64 v[46:47], v[207:208], v[195:196], -v[219:220]
	v_fma_f64 v[54:55], v[209:210], v[195:196], v[197:198]
	v_lshlrev_b32_e32 v210, 4, v193
	s_wait_loadcnt 0x6
	v_mul_f64_e32 v[197:198], v[74:75], v[10:11]
	v_mul_f64_e32 v[10:11], v[72:73], v[10:11]
	v_fma_f64 v[177:178], v[100:101], v[4:5], -v[177:178]
	v_fma_f64 v[4:5], v[102:103], v[4:5], v[179:180]
	ds_load_b128 v[100:103], v181 offset:36480
	v_fma_f64 v[96:97], v[96:97], v[56:57], -v[169:170]
	v_fma_f64 v[56:57], v[98:99], v[56:57], v[171:172]
	s_wait_loadcnt_dscnt 0x402
	v_mul_f64_e32 v[171:172], v[82:83], v[26:27]
	v_mul_f64_e32 v[26:27], v[80:81], v[26:27]
	;; [unrolled: 1-line block ×3, first 2 shown]
	v_fma_f64 v[108:109], v[108:109], v[52:53], -v[165:166]
	v_fma_f64 v[52:53], v[110:111], v[52:53], v[167:168]
	s_wait_loadcnt 0x3
	v_mul_f64_e32 v[110:111], v[66:67], v[30:31]
	v_mul_f64_e32 v[30:31], v[64:65], v[30:31]
	s_wait_loadcnt 0x2
	v_mul_f64_e32 v[165:166], v[70:71], v[34:35]
	v_fma_f64 v[92:93], v[92:93], v[48:49], -v[161:162]
	v_fma_f64 v[173:174], v[112:113], v[0:1], -v[173:174]
	v_fma_f64 v[0:1], v[114:115], v[0:1], v[175:176]
	ds_load_b128 v[112:115], v181 offset:55680
	v_mul_f64_e32 v[175:176], v[84:85], v[18:19]
	s_wait_dscnt 0x2
	v_mul_f64_e32 v[98:99], v[90:91], v[14:15]
	v_mul_f64_e32 v[169:170], v[88:89], v[14:15]
	v_fma_f64 v[48:49], v[94:95], v[48:49], v[163:164]
	v_mul_f64_e32 v[34:35], v[68:69], v[34:35]
	s_wait_loadcnt_dscnt 0x101
	v_mul_f64_e32 v[94:95], v[102:103], v[38:39]
	v_mul_f64_e32 v[38:39], v[100:101], v[38:39]
	v_fma_f64 v[104:105], v[104:105], v[44:45], -v[157:158]
	v_mul_f64_e32 v[179:180], v[78:79], v[22:23]
	v_mul_f64_e32 v[22:23], v[76:77], v[22:23]
	v_fma_f64 v[106:107], v[106:107], v[44:45], v[159:160]
	v_lshlrev_b32_e32 v18, 4, v189
	v_add_f64_e32 v[163:164], v[143:144], v[50:51]
	v_and_b32_e32 v14, 0xffff, v192
	v_fma_f64 v[72:73], v[72:73], v[8:9], -v[197:198]
	v_fma_f64 v[8:9], v[74:75], v[8:9], v[10:11]
	v_add3_u32 v189, 0, v199, v18
	s_delay_alu instid0(VALU_DEP_4)
	v_mul_u32_u24_e32 v209, 0x2580, v14
	s_wait_loadcnt_dscnt 0x0
	v_mul_f64_e32 v[161:162], v[114:115], v[42:43]
	v_mul_f64_e32 v[157:158], v[112:113], v[42:43]
	v_fma_f64 v[74:75], v[80:81], v[24:25], -v[171:172]
	v_fma_f64 v[24:25], v[82:83], v[24:25], v[26:27]
	v_add_f64_e32 v[26:27], v[151:152], v[6:7]
	v_add_f64_e32 v[80:81], v[149:150], v[131:132]
	v_fma_f64 v[84:85], v[84:85], v[16:17], -v[195:196]
	v_fma_f64 v[64:65], v[64:65], v[28:29], -v[110:111]
	v_fma_f64 v[28:29], v[66:67], v[28:29], v[30:31]
	v_fma_f64 v[30:31], v[68:69], v[32:33], -v[165:166]
	v_add_f64_e32 v[82:83], v[62:63], v[133:134]
	v_add_f64_e32 v[68:69], v[133:134], v[129:130]
	;; [unrolled: 1-line block ×3, first 2 shown]
	v_add_f64_e64 v[207:208], v[0:1], -v[52:53]
	v_fma_f64 v[86:87], v[86:87], v[16:17], v[175:176]
	v_fma_f64 v[10:11], v[88:89], v[12:13], -v[98:99]
	v_fma_f64 v[12:13], v[90:91], v[12:13], v[169:170]
	v_add_f64_e32 v[88:89], v[147:148], v[54:55]
	v_fma_f64 v[32:33], v[70:71], v[32:33], v[34:35]
	v_fma_f64 v[66:67], v[100:101], v[36:37], -v[94:95]
	v_fma_f64 v[36:37], v[102:103], v[36:37], v[38:39]
	v_add_f64_e32 v[70:71], v[60:61], v[135:136]
	v_add_f64_e32 v[94:95], v[155:156], v[46:47]
	;; [unrolled: 1-line block ×4, first 2 shown]
	v_fma_f64 v[22:23], v[78:79], v[20:21], v[22:23]
	v_add_f64_e32 v[90:91], v[137:138], v[149:150]
	v_add_f64_e32 v[98:99], v[139:140], v[151:152]
	v_add_f64_e64 v[149:150], v[149:150], -v[131:132]
	v_add_f64_e64 v[151:152], v[151:152], -v[6:7]
	v_add_f64_e32 v[38:39], v[135:136], v[141:142]
	v_fma_f64 v[159:160], v[76:77], v[20:21], -v[179:180]
	v_add_f64_e64 v[135:136], v[135:136], -v[141:142]
	v_fma_f64 v[34:35], v[112:113], v[40:41], -v[161:162]
	v_fma_f64 v[40:41], v[114:115], v[40:41], v[157:158]
	v_add_f64_e32 v[157:158], v[153:154], v[147:148]
	v_add_f64_e32 v[161:162], v[58:59], v[2:3]
	ds_load_b128 v[18:21], v119
	ds_load_b128 v[42:45], v185
	ds_load_b128 v[14:17], v184
	ds_load_b128 v[76:79], v186
	v_add_f64_e32 v[114:115], v[145:146], v[155:156]
	v_add_f64_e64 v[155:156], v[155:156], -v[46:47]
	v_add_f64_e64 v[147:148], v[147:148], -v[54:55]
	v_fma_f64 v[26:27], v[26:27], -0.5, v[139:140]
	v_fma_f64 v[80:81], v[80:81], -0.5, v[137:138]
	v_add_f64_e32 v[179:180], v[4:5], v[56:57]
	v_add_f64_e64 v[56:57], v[56:57], -v[48:49]
	v_add_f64_e32 v[175:176], v[177:178], v[96:97]
	v_add_f64_e64 v[133:134], v[133:134], -v[129:130]
	v_add_f64_e32 v[137:138], v[104:105], v[84:85]
	v_add_f64_e32 v[165:166], v[173:174], v[108:109]
	;; [unrolled: 1-line block ×3, first 2 shown]
	global_wb scope:SCOPE_SE
	s_wait_dscnt 0x0
	v_add_f64_e32 v[139:140], v[106:107], v[86:87]
	v_add_f64_e32 v[203:204], v[84:85], v[10:11]
	;; [unrolled: 1-line block ×3, first 2 shown]
	v_fma_f64 v[88:89], v[88:89], -0.5, v[153:154]
	v_add_f64_e32 v[102:103], v[18:19], v[58:59]
	v_add_f64_e32 v[112:113], v[20:21], v[143:144]
	;; [unrolled: 1-line block ×4, first 2 shown]
	v_fma_f64 v[94:95], v[94:95], -0.5, v[145:146]
	v_fma_f64 v[100:101], v[100:101], -0.5, v[177:178]
	;; [unrolled: 1-line block ×3, first 2 shown]
	v_add_f64_e64 v[0:1], v[96:97], -v[92:93]
	v_add_f64_e32 v[195:196], v[22:23], v[8:9]
	v_add_f64_e32 v[199:200], v[16:17], v[22:23]
	;; [unrolled: 1-line block ×3, first 2 shown]
	v_add_f64_e64 v[96:97], v[22:23], -v[8:9]
	v_fma_f64 v[38:39], v[38:39], -0.5, v[60:61]
	v_fma_f64 v[60:61], v[68:69], -0.5, v[62:63]
	v_add_f64_e32 v[62:63], v[28:29], v[32:33]
	v_add_f64_e32 v[153:154], v[66:67], v[34:35]
	;; [unrolled: 1-line block ×3, first 2 shown]
	v_add_f64_e64 v[22:23], v[66:67], -v[34:35]
	v_add_f64_e32 v[66:67], v[82:83], v[129:130]
	v_add_f64_e32 v[82:83], v[90:91], v[131:132]
	;; [unrolled: 1-line block ×3, first 2 shown]
	v_add_f64_e64 v[84:85], v[84:85], -v[10:11]
	v_add_f64_e64 v[86:87], v[86:87], -v[12:13]
	v_add_f64_e64 v[131:132], v[28:29], -v[32:33]
	s_wait_alu 0xfffe
	v_fma_f64 v[90:91], v[149:150], s[10:11], v[26:27]
	v_fma_f64 v[129:130], v[151:152], s[4:5], v[80:81]
	v_add_f64_e32 v[6:7], v[98:99], v[6:7]
	v_add_f64_e32 v[169:170], v[42:43], v[173:174]
	;; [unrolled: 1-line block ×4, first 2 shown]
	v_add_f64_e64 v[36:37], v[36:37], -v[40:41]
	v_add_f64_e32 v[192:193], v[159:160], v[72:73]
	v_add_f64_e64 v[143:144], v[143:144], -v[50:51]
	v_add_f64_e32 v[46:47], v[114:115], v[46:47]
	v_add_f64_e32 v[54:55], v[157:158], v[54:55]
	v_fma_f64 v[98:99], v[203:204], -0.5, v[104:105]
	v_fma_f64 v[28:29], v[205:206], -0.5, v[106:107]
	;; [unrolled: 1-line block ×4, first 2 shown]
	v_add_f64_e32 v[102:103], v[102:103], v[2:3]
	v_add_f64_e32 v[50:51], v[112:113], v[50:51]
	v_fma_f64 v[112:113], v[155:156], s[10:11], v[88:89]
	v_fma_f64 v[114:115], v[147:148], s[4:5], v[94:95]
	;; [unrolled: 1-line block ×5, first 2 shown]
	v_add_f64_e32 v[68:69], v[76:77], v[64:65]
	v_add_f64_e32 v[52:53], v[171:172], v[52:53]
	;; [unrolled: 1-line block ×3, first 2 shown]
	v_add_f64_e64 v[159:160], v[159:160], -v[72:73]
	v_add_f64_e32 v[137:138], v[137:138], v[10:11]
	v_add_f64_e32 v[139:140], v[139:140], v[12:13]
	v_fma_f64 v[62:63], v[62:63], -0.5, v[78:79]
	v_fma_f64 v[20:21], v[153:154], -0.5, v[74:75]
	;; [unrolled: 1-line block ×3, first 2 shown]
	v_fma_f64 v[74:75], v[151:152], s[10:11], v[80:81]
	v_fma_f64 v[80:81], v[149:150], s[4:5], v[26:27]
	v_fma_f64 v[149:150], v[56:57], s[4:5], v[100:101]
	v_fma_f64 v[56:57], v[56:57], s[10:11], v[100:101]
	v_fma_f64 v[100:101], v[0:1], s[4:5], v[4:5]
	v_add_f64_e32 v[78:79], v[145:146], v[32:33]
	v_add_f64_e32 v[26:27], v[175:176], v[92:93]
	v_mul_f64_e32 v[151:152], s[4:5], v[90:91]
	v_mul_f64_e32 v[153:154], s[10:11], v[129:130]
	v_add_f64_e32 v[141:142], v[199:200], v[8:9]
	v_add_f64_e32 v[24:25], v[169:170], v[108:109]
	;; [unrolled: 1-line block ×4, first 2 shown]
	v_add_f64_e64 v[4:5], v[70:71], -v[82:83]
	v_add_f64_e32 v[110:111], v[110:111], v[40:41]
	v_add_f64_e64 v[58:59], v[58:59], -v[2:3]
	v_fma_f64 v[92:93], v[192:193], -0.5, v[14:15]
	v_add_f64_e32 v[2:3], v[66:67], v[6:7]
	v_fma_f64 v[155:156], v[86:87], s[4:5], v[98:99]
	v_fma_f64 v[145:146], v[84:85], s[10:11], v[28:29]
	;; [unrolled: 1-line block ×4, first 2 shown]
	v_add_f64_e32 v[8:9], v[102:103], v[46:47]
	v_add_f64_e32 v[10:11], v[50:51], v[54:55]
	v_add_f64_e64 v[12:13], v[102:103], -v[46:47]
	v_add_f64_e64 v[14:15], v[50:51], -v[54:55]
	v_mul_f64_e32 v[46:47], s[4:5], v[112:113]
	v_mul_f64_e32 v[50:51], s[10:11], v[114:115]
	v_add_f64_e64 v[6:7], v[66:67], -v[6:7]
	v_mul_f64_e32 v[54:55], -0.5, v[94:95]
	v_mul_f64_e32 v[66:67], -0.5, v[88:89]
	v_add_f64_e64 v[173:174], v[173:174], -v[108:109]
	v_fma_f64 v[42:43], v[165:166], -0.5, v[42:43]
	v_fma_f64 v[44:45], v[167:168], -0.5, v[44:45]
	v_mul_f64_e32 v[165:166], s[4:5], v[147:148]
	v_fma_f64 v[102:103], v[133:134], s[4:5], v[38:39]
	v_fma_f64 v[70:71], v[36:37], s[10:11], v[20:21]
	;; [unrolled: 1-line block ×5, first 2 shown]
	v_mul_f64_e32 v[36:37], -0.5, v[74:75]
	v_mul_f64_e32 v[40:41], -0.5, v[80:81]
	v_mul_f64_e32 v[167:168], s[10:11], v[149:150]
	v_fma_f64 v[163:164], v[135:136], s[10:11], v[60:61]
	v_mul_f64_e32 v[169:170], -0.5, v[56:57]
	v_mul_f64_e32 v[171:172], -0.5, v[100:101]
	v_fma_f64 v[129:130], v[129:130], 0.5, v[151:152]
	v_fma_f64 v[90:91], v[90:91], 0.5, v[153:154]
	v_fma_f64 v[108:109], v[195:196], -0.5, v[16:17]
	v_add_f64_e32 v[68:69], v[68:69], v[30:31]
	v_add_f64_e32 v[157:158], v[177:178], v[34:35]
	;; [unrolled: 1-line block ×3, first 2 shown]
	v_add_f64_e64 v[22:23], v[52:53], -v[48:49]
	v_add_f64_e64 v[64:65], v[64:65], -v[30:31]
	v_fma_f64 v[76:77], v[201:202], -0.5, v[76:77]
	v_add_f64_e32 v[16:17], v[24:25], v[26:27]
	v_mul_f64_e32 v[52:53], s[10:11], v[155:156]
	v_mul_f64_e32 v[48:49], s[4:5], v[145:146]
	v_add_f64_e64 v[20:21], v[24:25], -v[26:27]
	v_add_f64_e32 v[24:25], v[72:73], v[137:138]
	v_add_f64_e32 v[26:27], v[141:142], v[139:140]
	v_add_f64_e64 v[28:29], v[72:73], -v[137:138]
	v_add_f64_e64 v[30:31], v[141:142], -v[139:140]
	v_mul_f64_e32 v[72:73], -0.5, v[86:87]
	v_mul_f64_e32 v[137:138], -0.5, v[84:85]
	v_fma_f64 v[133:134], v[133:134], s[10:11], v[38:39]
	v_fma_f64 v[60:61], v[135:136], s[4:5], v[60:61]
	v_fma_f64 v[135:136], v[143:144], s[4:5], v[104:105]
	v_fma_f64 v[104:105], v[143:144], s[10:11], v[104:105]
	v_fma_f64 v[143:144], v[58:59], s[10:11], v[106:107]
	v_fma_f64 v[114:115], v[114:115], 0.5, v[46:47]
	v_fma_f64 v[112:113], v[112:113], 0.5, v[50:51]
	v_fma_f64 v[106:107], v[58:59], s[4:5], v[106:107]
	v_fma_f64 v[88:89], v[88:89], s[4:5], v[54:55]
	v_mul_f64_e32 v[151:152], -0.5, v[70:71]
	v_mul_f64_e32 v[139:140], s[4:5], v[98:99]
	v_mul_f64_e32 v[153:154], -0.5, v[82:83]
	v_mul_f64_e32 v[141:142], s[10:11], v[161:162]
	v_fma_f64 v[80:81], v[80:81], s[4:5], v[36:37]
	v_fma_f64 v[74:75], v[74:75], s[10:11], v[40:41]
	;; [unrolled: 1-line block ×5, first 2 shown]
	v_fma_f64 v[149:150], v[149:150], 0.5, v[165:166]
	v_fma_f64 v[147:148], v[147:148], 0.5, v[167:168]
	v_fma_f64 v[177:178], v[207:208], s[10:11], v[42:43]
	v_fma_f64 v[173:174], v[173:174], s[4:5], v[44:45]
	;; [unrolled: 1-line block ×4, first 2 shown]
	v_add_f64_e32 v[36:37], v[102:103], v[129:130]
	v_add_f64_e32 v[38:39], v[163:164], v[90:91]
	;; [unrolled: 1-line block ×3, first 2 shown]
	v_add_f64_e64 v[40:41], v[68:69], -v[157:158]
	v_fma_f64 v[157:158], v[96:97], s[4:5], v[92:93]
	v_fma_f64 v[167:168], v[159:160], s[10:11], v[108:109]
	;; [unrolled: 1-line block ×3, first 2 shown]
	v_fma_f64 v[96:97], v[155:156], 0.5, v[48:49]
	v_fma_f64 v[145:146], v[145:146], 0.5, v[52:53]
	v_fma_f64 v[108:109], v[159:160], s[4:5], v[108:109]
	v_fma_f64 v[155:156], v[131:132], s[4:5], v[76:77]
	;; [unrolled: 1-line block ×6, first 2 shown]
	v_add_f64_e64 v[48:49], v[102:103], -v[129:130]
	v_add_f64_e64 v[50:51], v[163:164], -v[90:91]
	s_barrier_signal -1
	s_barrier_wait -1
	v_add_f64_e32 v[56:57], v[135:136], v[114:115]
	v_add_f64_e32 v[58:59], v[143:144], v[112:113]
	global_inv scope:SCOPE_SE
	v_add_f64_e64 v[68:69], v[104:105], -v[88:89]
	v_fma_f64 v[151:152], v[82:83], s[4:5], v[151:152]
	v_fma_f64 v[139:140], v[161:162], 0.5, v[139:140]
	v_fma_f64 v[161:162], v[64:65], s[4:5], v[62:63]
	v_fma_f64 v[153:154], v[70:71], s[10:11], v[153:154]
	v_fma_f64 v[141:142], v[98:99], 0.5, v[141:142]
	v_add_f64_e32 v[44:45], v[133:134], v[80:81]
	v_add_f64_e32 v[46:47], v[60:61], v[74:75]
	v_add_f64_e64 v[54:55], v[60:61], -v[74:75]
	v_add_f64_e64 v[60:61], v[135:136], -v[114:115]
	v_add_f64_e64 v[62:63], v[143:144], -v[112:113]
	v_add_f64_e64 v[52:53], v[133:134], -v[80:81]
	v_add_f64_e64 v[70:71], v[106:107], -v[94:95]
	v_add_f64_e32 v[64:65], v[104:105], v[88:89]
	v_add_f64_e32 v[66:67], v[106:107], v[94:95]
	ds_store_b128 v189, v[0:3]
	ds_store_b128 v189, v[36:39] offset:1600
	v_add_f64_e64 v[0:1], v[175:176], -v[149:150]
	v_add_f64_e64 v[2:3], v[179:180], -v[147:148]
	v_add_f64_e32 v[72:73], v[175:176], v[149:150]
	v_add_f64_e32 v[74:75], v[179:180], v[147:148]
	v_add_f64_e64 v[36:37], v[177:178], -v[100:101]
	v_add_f64_e64 v[38:39], v[173:174], -v[165:166]
	v_add_f64_e32 v[34:35], v[78:79], v[110:111]
	v_add_f64_e64 v[42:43], v[78:79], -v[110:111]
	v_add_f64_e32 v[76:77], v[177:178], v[100:101]
	v_add_f64_e32 v[78:79], v[173:174], v[165:166]
	v_add_f64_e32 v[80:81], v[157:158], v[96:97]
	v_add_f64_e32 v[82:83], v[167:168], v[145:146]
	v_add_f64_e32 v[88:89], v[92:93], v[159:160]
	v_add_f64_e32 v[90:91], v[108:109], v[137:138]
	v_add_f64_e64 v[84:85], v[157:158], -v[96:97]
	v_add_f64_e64 v[86:87], v[167:168], -v[145:146]
	;; [unrolled: 1-line block ×4, first 2 shown]
	ds_store_b128 v189, v[44:47] offset:3200
	ds_store_b128 v189, v[4:7] offset:4800
	v_add_f64_e32 v[104:105], v[131:132], v[151:152]
	v_add_f64_e32 v[106:107], v[161:162], v[153:154]
	v_add_f64_e64 v[100:101], v[155:156], -v[139:140]
	v_add_f64_e64 v[102:103], v[169:170], -v[141:142]
	v_add_f64_e64 v[108:109], v[131:132], -v[151:152]
	v_add_f64_e64 v[110:111], v[161:162], -v[153:154]
	v_add_f64_e32 v[96:97], v[155:156], v[139:140]
	v_add_f64_e32 v[98:99], v[169:170], v[141:142]
	v_add3_u32 v4, 0, v209, v210
	v_mul_u32_u24_e32 v5, 0x2580, v127
	v_lshlrev_b32_e32 v6, 4, v188
	ds_store_b128 v189, v[48:51] offset:6400
	ds_store_b128 v189, v[52:55] offset:8000
	ds_store_b128 v4, v[8:11]
	ds_store_b128 v4, v[56:59] offset:1600
	ds_store_b128 v4, v[64:67] offset:3200
	;; [unrolled: 1-line block ×5, first 2 shown]
	v_add3_u32 v5, 0, v5, v6
	v_mul_u32_u24_e32 v4, 0x2580, v187
	v_lshlrev_b32_e32 v6, 4, v194
	ds_store_b128 v5, v[16:19]
	ds_store_b128 v5, v[72:75] offset:1600
	ds_store_b128 v5, v[76:79] offset:3200
	;; [unrolled: 1-line block ×3, first 2 shown]
	v_lshlrev_b32_e32 v7, 4, v191
	v_add3_u32 v4, 0, v4, v6
	v_mul_u32_u24_e32 v6, 0x2580, v190
	ds_store_b128 v5, v[0:3] offset:6400
	ds_store_b128 v5, v[36:39] offset:8000
	ds_store_b128 v4, v[24:27]
	ds_store_b128 v4, v[80:83] offset:1600
	v_mul_u32_u24_e32 v1, 5, v116
	v_mul_i32_i24_e32 v127, 5, v118
	v_add3_u32 v0, 0, v6, v7
	ds_store_b128 v4, v[88:91] offset:3200
	ds_store_b128 v4, v[28:31] offset:4800
	;; [unrolled: 1-line block ×4, first 2 shown]
	ds_store_b128 v0, v[32:35]
	ds_store_b128 v0, v[96:99] offset:1600
	v_lshlrev_b32_e32 v16, 4, v1
	ds_store_b128 v0, v[104:107] offset:3200
	ds_store_b128 v0, v[40:43] offset:4800
	;; [unrolled: 1-line block ×4, first 2 shown]
	global_wb scope:SCOPE_SE
	s_wait_dscnt 0x0
	s_barrier_signal -1
	s_barrier_wait -1
	global_inv scope:SCOPE_SE
	s_clause 0x3
	global_load_b128 v[12:15], v16, s[8:9] offset:9440
	global_load_b128 v[8:11], v16, s[8:9] offset:9456
	;; [unrolled: 1-line block ×4, first 2 shown]
	v_lshlrev_b64_e32 v[20:21], 4, v[127:128]
	global_load_b128 v[16:19], v16, s[8:9] offset:9504
	v_mul_i32_i24_e32 v127, 5, v126
	v_add_co_u32 v28, s0, s8, v20
	s_wait_alu 0xf1ff
	v_add_co_ci_u32_e64 v29, s0, s9, v21, s0
	s_clause 0x2
	global_load_b128 v[24:27], v[28:29], off offset:9440
	global_load_b128 v[20:23], v[28:29], off offset:9456
	;; [unrolled: 1-line block ×3, first 2 shown]
	v_lshlrev_b64_e32 v[40:41], 4, v[127:128]
	s_clause 0x1
	global_load_b128 v[32:35], v[28:29], off offset:9488
	global_load_b128 v[28:31], v[28:29], off offset:9504
	v_mul_i32_i24_e32 v127, 5, v125
	v_add_co_u32 v56, s0, s8, v40
	s_delay_alu instid0(VALU_DEP_2)
	v_lshlrev_b64_e32 v[48:49], 4, v[127:128]
	s_wait_alu 0xf1ff
	v_add_co_ci_u32_e64 v57, s0, s9, v41, s0
	s_clause 0x1
	global_load_b128 v[44:47], v[56:57], off offset:9456
	global_load_b128 v[40:43], v[56:57], off offset:9488
	v_add_co_u32 v58, s0, s8, v48
	s_wait_alu 0xf1ff
	v_add_co_ci_u32_e64 v59, s0, s9, v49, s0
	v_mul_i32_i24_e32 v127, 5, v124
	s_clause 0x1
	global_load_b128 v[48:51], v[58:59], off offset:9456
	global_load_b128 v[52:55], v[58:59], off offset:9488
	v_lshlrev_b64_e32 v[60:61], 4, v[127:128]
	s_delay_alu instid0(VALU_DEP_1) | instskip(SKIP_1) | instid1(VALU_DEP_2)
	v_add_co_u32 v72, s0, s8, v60
	s_wait_alu 0xf1ff
	v_add_co_ci_u32_e64 v73, s0, s9, v61, s0
	s_clause 0xa
	global_load_b128 v[92:95], v[72:73], off offset:9456
	global_load_b128 v[88:91], v[72:73], off offset:9488
	global_load_b128 v[96:99], v[56:57], off offset:9440
	global_load_b128 v[84:87], v[56:57], off offset:9472
	global_load_b128 v[80:83], v[56:57], off offset:9504
	global_load_b128 v[76:79], v[58:59], off offset:9440
	global_load_b128 v[68:71], v[58:59], off offset:9472
	global_load_b128 v[64:67], v[58:59], off offset:9504
	global_load_b128 v[60:63], v[72:73], off offset:9440
	global_load_b128 v[56:59], v[72:73], off offset:9472
	global_load_b128 v[72:75], v[72:73], off offset:9504
	ds_load_b128 v[112:115], v181 offset:9600
	ds_load_b128 v[108:111], v181 offset:19200
	;; [unrolled: 1-line block ×4, first 2 shown]
	ds_load_b128 v[129:132], v181
	ds_load_b128 v[133:136], v181 offset:48000
	ds_load_b128 v[137:140], v181 offset:21120
	ds_load_b128 v[141:144], v181 offset:26880
	ds_load_b128 v[145:148], v181 offset:11520
	ds_load_b128 v[149:152], v181 offset:40320
	ds_load_b128 v[153:156], v181 offset:30720
	ds_load_b128 v[157:160], v181 offset:46080
	ds_load_b128 v[161:164], v181 offset:49920
	ds_load_b128 v[165:168], v181 offset:13440
	ds_load_b128 v[169:172], v181 offset:23040
	ds_load_b128 v[173:176], v181 offset:32640
	ds_load_b128 v[177:180], v181 offset:42240
	s_wait_loadcnt_dscnt 0x1810
	v_mul_f64_e32 v[187:188], v[114:115], v[14:15]
	v_mul_f64_e32 v[14:15], v[112:113], v[14:15]
	s_wait_loadcnt_dscnt 0x160e
	v_mul_f64_e32 v[191:192], v[106:107], v[6:7]
	v_mul_f64_e32 v[193:194], v[104:105], v[6:7]
	;; [unrolled: 1-line block ×4, first 2 shown]
	s_wait_loadcnt_dscnt 0x150d
	v_mul_f64_e32 v[195:196], v[102:103], v[2:3]
	v_mul_f64_e32 v[197:198], v[100:101], v[2:3]
	s_wait_loadcnt_dscnt 0x140b
	v_mul_f64_e32 v[199:200], v[135:136], v[18:19]
	v_mul_f64_e32 v[18:19], v[133:134], v[18:19]
	;; [unrolled: 3-line block ×3, first 2 shown]
	s_wait_loadcnt_dscnt 0x1007
	v_mul_f64_e32 v[203:204], v[149:150], v[34:35]
	v_fma_f64 v[112:113], v[112:113], v[12:13], -v[187:188]
	v_fma_f64 v[114:115], v[114:115], v[12:13], v[14:15]
	v_fma_f64 v[104:105], v[104:105], v[4:5], -v[191:192]
	v_fma_f64 v[106:107], v[106:107], v[4:5], v[193:194]
	ds_load_b128 v[2:5], v181 offset:24960
	v_mul_f64_e32 v[14:15], v[139:140], v[22:23]
	v_mul_f64_e32 v[22:23], v[137:138], v[22:23]
	s_wait_dscnt 0x7
	v_mul_f64_e32 v[187:188], v[155:156], v[38:39]
	v_mul_f64_e32 v[38:39], v[153:154], v[38:39]
	v_fma_f64 v[108:109], v[108:109], v[8:9], -v[189:190]
	v_mul_f64_e32 v[189:190], v[151:152], v[34:35]
	v_fma_f64 v[110:111], v[110:111], v[8:9], v[10:11]
	ds_load_b128 v[6:9], v181 offset:51840
	ds_load_b128 v[10:13], v181 offset:44160
	v_fma_f64 v[195:196], v[100:101], v[0:1], -v[195:196]
	v_fma_f64 v[197:198], v[102:103], v[0:1], v[197:198]
	s_wait_loadcnt_dscnt 0xe05
	v_mul_f64_e32 v[0:1], v[171:172], v[46:47]
	v_mul_f64_e32 v[46:47], v[169:170], v[46:47]
	;; [unrolled: 1-line block ×3, first 2 shown]
	v_fma_f64 v[133:134], v[133:134], v[16:17], -v[199:200]
	s_wait_loadcnt_dscnt 0xd03
	v_mul_f64_e32 v[199:200], v[179:180], v[42:43]
	v_mul_f64_e32 v[42:43], v[177:178], v[42:43]
	v_mul_f64_e32 v[193:194], v[161:162], v[30:31]
	v_fma_f64 v[147:148], v[147:148], v[24:25], v[26:27]
	s_wait_loadcnt_dscnt 0xc02
	v_mul_f64_e32 v[205:206], v[4:5], v[50:51]
	v_mul_f64_e32 v[50:51], v[2:3], v[50:51]
	v_fma_f64 v[135:136], v[135:136], v[16:17], v[18:19]
	v_fma_f64 v[145:146], v[145:146], v[24:25], -v[201:202]
	v_fma_f64 v[151:152], v[151:152], v[32:33], v[203:204]
	s_wait_loadcnt_dscnt 0xb00
	v_mul_f64_e32 v[26:27], v[12:13], v[54:55]
	v_mul_f64_e32 v[54:55], v[10:11], v[54:55]
	v_fma_f64 v[137:138], v[137:138], v[20:21], -v[14:15]
	v_fma_f64 v[139:140], v[139:140], v[20:21], v[22:23]
	ds_load_b128 v[14:17], v181 offset:15360
	ds_load_b128 v[18:21], v181 offset:17280
	v_fma_f64 v[153:154], v[153:154], v[36:37], -v[187:188]
	v_fma_f64 v[155:156], v[155:156], v[36:37], v[38:39]
	ds_load_b128 v[22:25], v181 offset:34560
	ds_load_b128 v[34:37], v181 offset:36480
	v_fma_f64 v[149:150], v[149:150], v[32:33], -v[189:190]
	ds_load_b128 v[30:33], v181 offset:53760
	ds_load_b128 v[100:103], v181 offset:55680
	s_wait_loadcnt 0x9
	v_mul_f64_e32 v[187:188], v[159:160], v[90:91]
	s_wait_loadcnt 0x7
	v_mul_f64_e32 v[189:190], v[175:176], v[86:87]
	v_mul_f64_e32 v[86:87], v[173:174], v[86:87]
	v_fma_f64 v[169:170], v[169:170], v[44:45], -v[0:1]
	v_fma_f64 v[44:45], v[171:172], v[44:45], v[46:47]
	s_wait_loadcnt 0x6
	v_mul_f64_e32 v[46:47], v[8:9], v[82:83]
	v_mul_f64_e32 v[82:83], v[6:7], v[82:83]
	;; [unrolled: 1-line block ×3, first 2 shown]
	v_fma_f64 v[161:162], v[161:162], v[28:29], -v[191:192]
	v_fma_f64 v[42:43], v[179:180], v[40:41], v[42:43]
	v_fma_f64 v[163:164], v[163:164], v[28:29], v[193:194]
	v_fma_f64 v[191:192], v[2:3], v[48:49], -v[205:206]
	v_fma_f64 v[4:5], v[4:5], v[48:49], v[50:51]
	v_fma_f64 v[171:172], v[177:178], v[40:41], -v[199:200]
	v_mul_f64_e32 v[38:39], v[143:144], v[94:95]
	s_wait_loadcnt_dscnt 0x505
	v_mul_f64_e32 v[177:178], v[16:17], v[78:79]
	s_wait_loadcnt_dscnt 0x403
	v_mul_f64_e32 v[179:180], v[24:25], v[70:71]
	v_mul_f64_e32 v[70:71], v[22:23], v[70:71]
	s_wait_loadcnt_dscnt 0x301
	v_mul_f64_e32 v[48:49], v[32:33], v[66:67]
	v_mul_f64_e32 v[50:51], v[30:31], v[66:67]
	v_fma_f64 v[193:194], v[10:11], v[52:53], -v[26:27]
	v_fma_f64 v[52:53], v[12:13], v[52:53], v[54:55]
	s_wait_loadcnt 0x1
	v_mul_f64_e32 v[54:55], v[36:37], v[58:59]
	v_mul_f64_e32 v[58:59], v[34:35], v[58:59]
	s_wait_loadcnt_dscnt 0x0
	v_mul_f64_e32 v[199:200], v[102:103], v[74:75]
	v_mul_f64_e32 v[74:75], v[100:101], v[74:75]
	;; [unrolled: 1-line block ×8, first 2 shown]
	ds_load_b128 v[0:3], v119
	ds_load_b128 v[10:13], v185
	v_add_f64_e32 v[201:202], v[147:148], v[155:156]
	v_fma_f64 v[157:158], v[157:158], v[88:89], -v[187:188]
	v_fma_f64 v[6:7], v[6:7], v[80:81], -v[46:47]
	v_fma_f64 v[8:9], v[8:9], v[80:81], v[82:83]
	v_fma_f64 v[88:89], v[159:160], v[88:89], v[90:91]
	v_fma_f64 v[90:91], v[173:174], v[84:85], -v[189:190]
	v_fma_f64 v[84:85], v[175:176], v[84:85], v[86:87]
	v_add_f64_e32 v[82:83], v[155:156], v[163:164]
	v_add_f64_e64 v[155:156], v[155:156], -v[163:164]
	s_wait_dscnt 0x1
	v_add_f64_e32 v[80:81], v[2:3], v[139:140]
	v_fma_f64 v[141:142], v[141:142], v[92:93], -v[38:39]
	v_fma_f64 v[14:15], v[14:15], v[76:77], -v[177:178]
	;; [unrolled: 1-line block ×3, first 2 shown]
	v_fma_f64 v[24:25], v[24:25], v[68:69], v[70:71]
	v_fma_f64 v[30:31], v[30:31], v[64:65], -v[48:49]
	v_fma_f64 v[32:33], v[32:33], v[64:65], v[50:51]
	v_add_f64_e32 v[177:178], v[112:113], v[104:105]
	v_add_f64_e32 v[179:180], v[114:115], v[106:107]
	v_fma_f64 v[34:35], v[34:35], v[56:57], -v[54:55]
	v_fma_f64 v[36:37], v[36:37], v[56:57], v[58:59]
	v_fma_f64 v[46:47], v[100:101], v[72:73], -v[199:200]
	v_fma_f64 v[48:49], v[102:103], v[72:73], v[74:75]
	v_fma_f64 v[18:19], v[18:19], v[60:61], -v[66:67]
	v_add_f64_e32 v[66:67], v[106:107], v[135:136]
	v_add_f64_e32 v[74:75], v[104:105], v[133:134]
	;; [unrolled: 1-line block ×3, first 2 shown]
	v_fma_f64 v[165:166], v[165:166], v[96:97], -v[28:29]
	v_fma_f64 v[96:97], v[167:168], v[96:97], v[98:99]
	v_fma_f64 v[16:17], v[16:17], v[76:77], v[78:79]
	v_add_f64_e32 v[56:57], v[137:138], v[149:150]
	v_add_f64_e32 v[58:59], v[139:140], v[151:152]
	v_fma_f64 v[20:21], v[20:21], v[60:61], v[62:63]
	v_fma_f64 v[92:93], v[143:144], v[92:93], v[94:95]
	ds_load_b128 v[26:29], v184
	ds_load_b128 v[38:41], v186
	v_add_f64_e32 v[60:61], v[169:170], v[171:172]
	v_add_f64_e32 v[72:73], v[129:130], v[108:109]
	v_add_f64_e64 v[104:105], v[104:105], -v[133:134]
	v_add_f64_e64 v[106:107], v[106:107], -v[135:136]
	v_add_f64_e32 v[62:63], v[44:45], v[42:43]
	v_add_f64_e32 v[64:65], v[191:192], v[193:194]
	;; [unrolled: 1-line block ×7, first 2 shown]
	s_wait_dscnt 0x2
	v_add_f64_e32 v[86:87], v[10:11], v[169:170]
	v_add_f64_e32 v[94:95], v[12:13], v[44:45]
	;; [unrolled: 1-line block ×4, first 2 shown]
	v_add_f64_e64 v[153:154], v[153:154], -v[161:162]
	v_fma_f64 v[82:83], v[82:83], -0.5, v[147:148]
	v_add_f64_e64 v[211:212], v[4:5], -v[52:53]
	v_add_f64_e32 v[189:190], v[22:23], v[30:31]
	v_add_f64_e32 v[187:188], v[24:25], v[32:33]
	s_wait_dscnt 0x1
	v_add_f64_e32 v[102:103], v[28:29], v[4:5]
	v_add_f64_e64 v[4:5], v[22:23], -v[30:31]
	v_add_f64_e32 v[50:51], v[108:109], v[195:196]
	v_add_f64_e32 v[54:55], v[110:111], v[197:198]
	;; [unrolled: 1-line block ×5, first 2 shown]
	v_fma_f64 v[66:67], v[66:67], -0.5, v[114:115]
	v_fma_f64 v[74:75], v[74:75], -0.5, v[112:113]
	v_add_f64_e32 v[114:115], v[14:15], v[22:23]
	v_fma_f64 v[22:23], v[100:101], -0.5, v[145:146]
	v_add_f64_e32 v[203:204], v[165:166], v[90:91]
	v_add_f64_e32 v[205:206], v[96:97], v[84:85]
	v_add_f64_e64 v[90:91], v[90:91], -v[6:7]
	v_add_f64_e64 v[84:85], v[84:85], -v[8:9]
	v_add_f64_e32 v[112:113], v[16:17], v[24:25]
	v_add_f64_e64 v[24:25], v[24:25], -v[32:33]
	v_fma_f64 v[56:57], v[56:57], -0.5, v[0:1]
	v_fma_f64 v[58:59], v[58:59], -0.5, v[2:3]
	v_add_f64_e32 v[100:101], v[20:21], v[36:37]
	v_add_f64_e32 v[143:144], v[92:93], v[88:89]
	v_add_f64_e64 v[34:35], v[34:35], -v[46:47]
	v_add_f64_e64 v[36:37], v[36:37], -v[48:49]
	s_wait_dscnt 0x0
	v_add_f64_e32 v[159:160], v[38:39], v[141:142]
	v_fma_f64 v[60:61], v[60:61], -0.5, v[10:11]
	v_add_f64_e32 v[10:11], v[72:73], v[195:196]
	v_fma_f64 v[145:146], v[175:176], -0.5, v[165:166]
	v_fma_f64 v[96:97], v[173:174], -0.5, v[96:97]
	v_add_f64_e32 v[98:99], v[26:27], v[191:192]
	v_add_f64_e64 v[44:45], v[44:45], -v[42:43]
	v_fma_f64 v[62:63], v[62:63], -0.5, v[12:13]
	v_fma_f64 v[64:65], v[64:65], -0.5, v[26:27]
	;; [unrolled: 1-line block ×4, first 2 shown]
	v_add_f64_e32 v[12:13], v[76:77], v[197:198]
	v_add_f64_e32 v[26:27], v[78:79], v[149:150]
	v_fma_f64 v[2:3], v[189:190], -0.5, v[14:15]
	v_fma_f64 v[0:1], v[187:188], -0.5, v[16:17]
	v_add_f64_e32 v[14:15], v[177:178], v[133:134]
	v_add_f64_e32 v[16:17], v[179:180], v[135:136]
	;; [unrolled: 1-line block ×4, first 2 shown]
	v_fma_f64 v[18:19], v[209:210], -0.5, v[18:19]
	v_fma_f64 v[20:21], v[207:208], -0.5, v[20:21]
	v_add_f64_e32 v[78:79], v[201:202], v[163:164]
	v_fma_f64 v[70:71], v[104:105], s[10:11], v[66:67]
	v_fma_f64 v[72:73], v[106:107], s[4:5], v[74:75]
	;; [unrolled: 1-line block ×4, first 2 shown]
	v_add_f64_e32 v[80:81], v[86:87], v[171:172]
	v_add_f64_e32 v[42:43], v[94:95], v[42:43]
	v_fma_f64 v[86:87], v[153:154], s[10:11], v[82:83]
	v_fma_f64 v[94:95], v[155:156], s[4:5], v[22:23]
	v_fma_f64 v[50:51], v[50:51], -0.5, v[129:130]
	v_fma_f64 v[129:130], v[155:156], s[10:11], v[22:23]
	v_fma_f64 v[82:83], v[153:154], s[4:5], v[82:83]
	v_add_f64_e64 v[108:109], v[108:109], -v[195:196]
	v_add_f64_e64 v[110:111], v[110:111], -v[197:198]
	v_fma_f64 v[54:55], v[54:55], -0.5, v[131:132]
	v_add_f64_e32 v[52:53], v[102:103], v[52:53]
	v_add_f64_e32 v[167:168], v[40:41], v[92:93]
	v_add_f64_e64 v[137:138], v[137:138], -v[149:150]
	v_add_f64_e64 v[139:140], v[139:140], -v[151:152]
	v_add_f64_e32 v[30:31], v[114:115], v[30:31]
	v_fma_f64 v[131:132], v[84:85], s[4:5], v[145:146]
	v_fma_f64 v[102:103], v[90:91], s[10:11], v[96:97]
	;; [unrolled: 1-line block ×4, first 2 shown]
	v_add_f64_e32 v[32:33], v[112:113], v[32:33]
	v_add_f64_e32 v[48:49], v[100:101], v[48:49]
	v_fma_f64 v[40:41], v[143:144], -0.5, v[40:41]
	v_add_f64_e32 v[104:105], v[203:204], v[6:7]
	v_add_f64_e32 v[106:107], v[205:206], v[8:9]
	;; [unrolled: 1-line block ×3, first 2 shown]
	v_fma_f64 v[114:115], v[24:25], s[4:5], v[2:3]
	v_fma_f64 v[112:113], v[4:5], s[10:11], v[0:1]
	;; [unrolled: 1-line block ×4, first 2 shown]
	v_add_f64_e32 v[98:99], v[98:99], v[193:194]
	v_add_f64_e32 v[0:1], v[10:11], v[14:15]
	v_fma_f64 v[143:144], v[36:37], s[4:5], v[18:19]
	v_fma_f64 v[135:136], v[34:35], s[10:11], v[20:21]
	;; [unrolled: 1-line block ×4, first 2 shown]
	v_mul_f64_e32 v[34:35], s[4:5], v[70:71]
	v_mul_f64_e32 v[36:37], s[10:11], v[72:73]
	v_mul_f64_e32 v[149:150], -0.5, v[74:75]
	v_mul_f64_e32 v[151:152], -0.5, v[66:67]
	v_add_f64_e32 v[2:3], v[12:13], v[16:17]
	v_add_f64_e64 v[4:5], v[10:11], -v[14:15]
	v_add_f64_e64 v[6:7], v[12:13], -v[16:17]
	v_add_f64_e32 v[8:9], v[26:27], v[76:77]
	v_add_f64_e32 v[10:11], v[28:29], v[78:79]
	v_add_f64_e64 v[12:13], v[26:27], -v[76:77]
	v_add_f64_e64 v[14:15], v[28:29], -v[78:79]
	v_mul_f64_e32 v[76:77], s[4:5], v[86:87]
	v_mul_f64_e32 v[78:79], s[10:11], v[94:95]
	v_add_f64_e64 v[141:142], v[141:142], -v[157:158]
	v_add_f64_e32 v[96:97], v[159:160], v[157:158]
	v_mul_f64_e32 v[157:158], -0.5, v[129:130]
	v_mul_f64_e32 v[159:160], -0.5, v[82:83]
	v_add_f64_e64 v[169:170], v[169:170], -v[171:172]
	v_fma_f64 v[153:154], v[110:111], s[4:5], v[50:51]
	v_fma_f64 v[155:156], v[108:109], s[10:11], v[54:55]
	;; [unrolled: 1-line block ×4, first 2 shown]
	v_mul_f64_e32 v[50:51], s[4:5], v[102:103]
	v_mul_f64_e32 v[108:109], s[10:11], v[131:132]
	v_add_f64_e64 v[92:93], v[92:93], -v[88:89]
	v_add_f64_e32 v[88:89], v[167:168], v[88:89]
	v_mul_f64_e32 v[165:166], -0.5, v[84:85]
	v_mul_f64_e32 v[167:168], -0.5, v[90:91]
	v_add_f64_e64 v[191:192], v[191:192], -v[193:194]
	v_fma_f64 v[161:162], v[139:140], s[4:5], v[56:57]
	v_fma_f64 v[163:164], v[137:138], s[10:11], v[58:59]
	;; [unrolled: 1-line block ×4, first 2 shown]
	v_mul_f64_e32 v[56:57], s[4:5], v[112:113]
	v_mul_f64_e32 v[58:59], s[10:11], v[114:115]
	v_mul_f64_e32 v[171:172], -0.5, v[100:101]
	v_mul_f64_e32 v[173:174], -0.5, v[133:134]
	v_add_f64_e32 v[16:17], v[80:81], v[104:105]
	v_add_f64_e32 v[18:19], v[42:43], v[106:107]
	v_add_f64_e64 v[20:21], v[80:81], -v[104:105]
	v_add_f64_e64 v[22:23], v[42:43], -v[106:107]
	v_mul_f64_e32 v[42:43], s[4:5], v[135:136]
	v_mul_f64_e32 v[80:81], s[10:11], v[143:144]
	v_mul_f64_e32 v[104:105], -0.5, v[145:146]
	v_mul_f64_e32 v[106:107], -0.5, v[147:148]
	v_fma_f64 v[72:73], v[72:73], 0.5, v[34:35]
	v_fma_f64 v[70:71], v[70:71], 0.5, v[36:37]
	v_add_f64_e32 v[24:25], v[98:99], v[30:31]
	v_add_f64_e32 v[26:27], v[52:53], v[32:33]
	v_add_f64_e64 v[28:29], v[98:99], -v[30:31]
	v_add_f64_e64 v[30:31], v[52:53], -v[32:33]
	v_fma_f64 v[52:53], v[66:67], s[4:5], v[149:150]
	v_fma_f64 v[66:67], v[74:75], s[10:11], v[151:152]
	v_fma_f64 v[74:75], v[94:95], 0.5, v[76:77]
	v_fma_f64 v[76:77], v[86:87], 0.5, v[78:79]
	v_fma_f64 v[78:79], v[82:83], s[4:5], v[157:158]
	v_fma_f64 v[82:83], v[129:130], s[10:11], v[159:160]
	;; [unrolled: 1-line block ×5, first 2 shown]
	v_fma_f64 v[131:132], v[131:132], 0.5, v[50:51]
	v_fma_f64 v[102:103], v[102:103], 0.5, v[108:109]
	v_fma_f64 v[94:95], v[169:170], s[4:5], v[62:63]
	v_fma_f64 v[129:130], v[211:212], s[4:5], v[64:65]
	;; [unrolled: 1-line block ×9, first 2 shown]
	v_fma_f64 v[114:115], v[114:115], 0.5, v[56:57]
	v_fma_f64 v[112:113], v[112:113], 0.5, v[58:59]
	v_fma_f64 v[133:134], v[133:134], s[4:5], v[171:172]
	v_fma_f64 v[167:168], v[100:101], s[10:11], v[173:174]
	;; [unrolled: 1-line block ×4, first 2 shown]
	v_add_f64_e32 v[34:35], v[88:89], v[48:49]
	v_add_f64_e64 v[38:39], v[88:89], -v[48:49]
	v_fma_f64 v[143:144], v[143:144], 0.5, v[42:43]
	v_fma_f64 v[135:136], v[135:136], 0.5, v[80:81]
	v_fma_f64 v[147:148], v[147:148], s[4:5], v[104:105]
	v_fma_f64 v[145:146], v[145:146], s[10:11], v[106:107]
	v_add_f64_e32 v[40:41], v[153:154], v[72:73]
	v_add_f64_e32 v[42:43], v[155:156], v[70:71]
	;; [unrolled: 1-line block ×3, first 2 shown]
	v_add_f64_e64 v[36:37], v[96:97], -v[46:47]
	v_add_f64_e64 v[44:45], v[153:154], -v[72:73]
	;; [unrolled: 1-line block ×3, first 2 shown]
	v_add_f64_e32 v[48:49], v[110:111], v[52:53]
	v_add_f64_e32 v[50:51], v[54:55], v[66:67]
	v_add_f64_e64 v[52:53], v[110:111], -v[52:53]
	v_add_f64_e64 v[54:55], v[54:55], -v[66:67]
	v_add_f64_e32 v[56:57], v[161:162], v[74:75]
	v_add_f64_e32 v[58:59], v[163:164], v[76:77]
	v_add_f64_e32 v[64:65], v[139:140], v[78:79]
	v_add_f64_e32 v[66:67], v[137:138], v[82:83]
	v_add_f64_e64 v[60:61], v[161:162], -v[74:75]
	v_add_f64_e64 v[62:63], v[163:164], -v[76:77]
	v_add_f64_e64 v[68:69], v[139:140], -v[78:79]
	v_add_f64_e64 v[70:71], v[137:138], -v[82:83]
	v_add_f64_e32 v[72:73], v[98:99], v[131:132]
	v_add_f64_e32 v[74:75], v[149:150], v[102:103]
	v_add_f64_e32 v[80:81], v[86:87], v[90:91]
	v_add_f64_e32 v[82:83], v[94:95], v[159:160]
	v_add_f64_e64 v[76:77], v[98:99], -v[131:132]
	v_add_f64_e64 v[78:79], v[149:150], -v[102:103]
	;; [unrolled: 8-line block ×4, first 2 shown]
	v_add_f64_e64 v[129:130], v[171:172], -v[147:148]
	v_add_f64_e64 v[131:132], v[141:142], -v[145:146]
	global_wb scope:SCOPE_SE
	s_barrier_signal -1
	s_barrier_wait -1
	global_inv scope:SCOPE_SE
	ds_store_b128 v181, v[0:3]
	ds_store_b128 v181, v[40:43] offset:9600
	ds_store_b128 v181, v[4:7] offset:28800
	ds_store_b128 v181, v[48:51] offset:19200
	ds_store_b128 v181, v[44:47] offset:38400
	ds_store_b128 v181, v[52:55] offset:48000
	ds_store_b128 v119, v[8:11]
	ds_store_b128 v119, v[56:59] offset:9600
	ds_store_b128 v119, v[64:67] offset:19200
	ds_store_b128 v119, v[12:15] offset:28800
	ds_store_b128 v119, v[60:63] offset:38400
	ds_store_b128 v119, v[68:71] offset:48000
	;; [unrolled: 6-line block ×5, first 2 shown]
	global_wb scope:SCOPE_SE
	s_wait_dscnt 0x0
	s_barrier_signal -1
	s_barrier_wait -1
	global_inv scope:SCOPE_SE
	ds_load_b128 v[4:7], v181
	v_sub_nc_u32_e32 v12, 0, v117
                                        ; implicit-def: $vgpr2_vgpr3
                                        ; implicit-def: $vgpr10_vgpr11
                                        ; implicit-def: $vgpr8_vgpr9
	v_cmpx_ne_u32_e32 0, v116
	s_xor_b32 s1, exec_lo, s1
	s_cbranch_execz .LBB0_15
; %bb.14:
	v_mov_b32_e32 v117, v128
	s_delay_alu instid0(VALU_DEP_1) | instskip(NEXT) | instid1(VALU_DEP_1)
	v_lshlrev_b64_e32 v[0:1], 4, v[116:117]
	v_add_co_u32 v0, s0, s8, v0
	s_wait_alu 0xf1ff
	s_delay_alu instid0(VALU_DEP_2)
	v_add_co_ci_u32_e64 v1, s0, s9, v1, s0
	global_load_b128 v[8:11], v[0:1], off offset:57440
	ds_load_b128 v[0:3], v12 offset:57600
	s_wait_dscnt 0x0
	v_add_f64_e64 v[13:14], v[4:5], -v[0:1]
	v_add_f64_e32 v[15:16], v[6:7], v[2:3]
	v_add_f64_e64 v[2:3], v[6:7], -v[2:3]
	v_add_f64_e32 v[0:1], v[4:5], v[0:1]
	s_delay_alu instid0(VALU_DEP_4) | instskip(NEXT) | instid1(VALU_DEP_4)
	v_mul_f64_e32 v[6:7], 0.5, v[13:14]
	v_mul_f64_e32 v[4:5], 0.5, v[15:16]
	s_delay_alu instid0(VALU_DEP_4) | instskip(SKIP_1) | instid1(VALU_DEP_3)
	v_mul_f64_e32 v[2:3], 0.5, v[2:3]
	s_wait_loadcnt 0x0
	v_mul_f64_e32 v[13:14], v[6:7], v[10:11]
	s_delay_alu instid0(VALU_DEP_2) | instskip(SKIP_1) | instid1(VALU_DEP_3)
	v_fma_f64 v[15:16], v[4:5], v[10:11], v[2:3]
	v_fma_f64 v[2:3], v[4:5], v[10:11], -v[2:3]
	v_fma_f64 v[17:18], v[0:1], 0.5, v[13:14]
	v_fma_f64 v[0:1], v[0:1], 0.5, -v[13:14]
	s_delay_alu instid0(VALU_DEP_4) | instskip(NEXT) | instid1(VALU_DEP_4)
	v_fma_f64 v[10:11], -v[8:9], v[6:7], v[15:16]
	v_fma_f64 v[2:3], -v[8:9], v[6:7], v[2:3]
	s_delay_alu instid0(VALU_DEP_4) | instskip(NEXT) | instid1(VALU_DEP_4)
	v_fma_f64 v[13:14], v[4:5], v[8:9], v[17:18]
	v_fma_f64 v[0:1], -v[4:5], v[8:9], v[0:1]
	v_dual_mov_b32 v8, v116 :: v_dual_mov_b32 v9, v117
                                        ; implicit-def: $vgpr4_vgpr5
	ds_store_b64 v181, v[13:14]
.LBB0_15:
	s_wait_alu 0xfffe
	s_or_saveexec_b32 s0, s1
	v_mul_i32_i24_e32 v14, 0xffffff70, v118
	v_mul_i32_i24_e32 v13, 0xffffff70, v126
	s_wait_alu 0xfffe
	s_xor_b32 exec_lo, exec_lo, s0
	s_cbranch_execz .LBB0_17
; %bb.16:
	s_wait_dscnt 0x0
	v_add_f64_e32 v[15:16], v[4:5], v[6:7]
	v_add_f64_e64 v[0:1], v[4:5], -v[6:7]
	v_mov_b32_e32 v6, 0
	v_mov_b32_e32 v10, 0
	v_dual_mov_b32 v11, 0 :: v_dual_mov_b32 v8, 0
	s_delay_alu instid0(VALU_DEP_2)
	v_mov_b32_e32 v2, v10
	ds_load_b64 v[4:5], v6 offset:28808
	v_mov_b32_e32 v9, 0
	v_mov_b32_e32 v3, v11
	s_wait_dscnt 0x0
	v_xor_b32_e32 v5, 0x80000000, v5
	ds_store_b64 v181, v[15:16]
	ds_store_b64 v6, v[4:5] offset:28808
.LBB0_17:
	s_or_b32 exec_lo, exec_lo, s0
	v_dual_mov_b32 v119, 0 :: v_dual_add_nc_u32 v14, v183, v14
	s_wait_dscnt 0x0
	s_delay_alu instid0(VALU_DEP_1) | instskip(SKIP_1) | instid1(VALU_DEP_1)
	v_lshlrev_b64_e32 v[4:5], 4, v[118:119]
	v_mov_b32_e32 v127, v119
	v_lshlrev_b64_e32 v[15:16], 4, v[126:127]
	v_mov_b32_e32 v126, v119
	s_delay_alu instid0(VALU_DEP_4) | instskip(SKIP_2) | instid1(VALU_DEP_4)
	v_add_co_u32 v4, s0, s8, v4
	s_wait_alu 0xf1ff
	v_add_co_ci_u32_e64 v5, s0, s9, v5, s0
	v_add_co_u32 v15, s0, s8, v15
	s_wait_alu 0xf1ff
	v_add_co_ci_u32_e64 v16, s0, s9, v16, s0
	s_clause 0x1
	global_load_b128 v[4:7], v[4:5], off offset:57440
	global_load_b128 v[15:18], v[15:16], off offset:57440
	ds_store_b64 v181, v[10:11] offset:8
	ds_store_b128 v12, v[0:3] offset:57600
	ds_load_b128 v[0:3], v14
	ds_load_b128 v[19:22], v12 offset:55680
	s_wait_dscnt 0x0
	v_add_f64_e64 v[10:11], v[0:1], -v[19:20]
	v_add_f64_e32 v[23:24], v[2:3], v[21:22]
	v_add_f64_e64 v[2:3], v[2:3], -v[21:22]
	v_add_f64_e32 v[0:1], v[0:1], v[19:20]
	s_delay_alu instid0(VALU_DEP_4) | instskip(NEXT) | instid1(VALU_DEP_4)
	v_mul_f64_e32 v[10:11], 0.5, v[10:11]
	v_mul_f64_e32 v[21:22], 0.5, v[23:24]
	s_delay_alu instid0(VALU_DEP_4) | instskip(SKIP_1) | instid1(VALU_DEP_3)
	v_mul_f64_e32 v[2:3], 0.5, v[2:3]
	s_wait_loadcnt 0x1
	v_mul_f64_e32 v[19:20], v[10:11], v[6:7]
	s_delay_alu instid0(VALU_DEP_2) | instskip(SKIP_1) | instid1(VALU_DEP_3)
	v_fma_f64 v[23:24], v[21:22], v[6:7], v[2:3]
	v_fma_f64 v[6:7], v[21:22], v[6:7], -v[2:3]
	v_fma_f64 v[25:26], v[0:1], 0.5, v[19:20]
	v_fma_f64 v[19:20], v[0:1], 0.5, -v[19:20]
	s_delay_alu instid0(VALU_DEP_4) | instskip(NEXT) | instid1(VALU_DEP_4)
	v_fma_f64 v[2:3], -v[4:5], v[10:11], v[23:24]
	v_fma_f64 v[6:7], -v[4:5], v[10:11], v[6:7]
	v_lshlrev_b64_e32 v[10:11], 4, v[125:126]
	v_mov_b32_e32 v125, v119
	s_delay_alu instid0(VALU_DEP_2) | instskip(SKIP_1) | instid1(VALU_DEP_3)
	v_add_co_u32 v10, s0, s8, v10
	s_wait_alu 0xf1ff
	v_add_co_ci_u32_e64 v11, s0, s9, v11, s0
	v_fma_f64 v[0:1], v[21:22], v[4:5], v[25:26]
	v_fma_f64 v[4:5], -v[21:22], v[4:5], v[19:20]
	global_load_b128 v[19:22], v[10:11], off offset:57440
	v_add_nc_u32_e32 v25, v182, v13
	ds_store_b128 v14, v[0:3]
	ds_store_b128 v12, v[4:7] offset:55680
	ds_load_b128 v[0:3], v25
	ds_load_b128 v[4:7], v12 offset:53760
	s_wait_dscnt 0x0
	v_add_f64_e64 v[10:11], v[0:1], -v[4:5]
	v_add_f64_e32 v[13:14], v[2:3], v[6:7]
	v_add_f64_e64 v[2:3], v[2:3], -v[6:7]
	v_add_f64_e32 v[0:1], v[0:1], v[4:5]
	s_delay_alu instid0(VALU_DEP_4) | instskip(NEXT) | instid1(VALU_DEP_4)
	v_mul_f64_e32 v[6:7], 0.5, v[10:11]
	v_mul_f64_e32 v[10:11], 0.5, v[13:14]
	s_delay_alu instid0(VALU_DEP_4) | instskip(SKIP_1) | instid1(VALU_DEP_3)
	v_mul_f64_e32 v[2:3], 0.5, v[2:3]
	s_wait_loadcnt 0x1
	v_mul_f64_e32 v[4:5], v[6:7], v[17:18]
	s_delay_alu instid0(VALU_DEP_2) | instskip(SKIP_1) | instid1(VALU_DEP_3)
	v_fma_f64 v[13:14], v[10:11], v[17:18], v[2:3]
	v_fma_f64 v[17:18], v[10:11], v[17:18], -v[2:3]
	v_fma_f64 v[23:24], v[0:1], 0.5, v[4:5]
	v_fma_f64 v[4:5], v[0:1], 0.5, -v[4:5]
	s_delay_alu instid0(VALU_DEP_4) | instskip(NEXT) | instid1(VALU_DEP_4)
	v_fma_f64 v[2:3], -v[15:16], v[6:7], v[13:14]
	v_fma_f64 v[6:7], -v[15:16], v[6:7], v[17:18]
	s_delay_alu instid0(VALU_DEP_4) | instskip(NEXT) | instid1(VALU_DEP_4)
	v_fma_f64 v[0:1], v[10:11], v[15:16], v[23:24]
	v_fma_f64 v[4:5], -v[10:11], v[15:16], v[4:5]
	v_lshlrev_b64_e32 v[10:11], 4, v[124:125]
	s_delay_alu instid0(VALU_DEP_1) | instskip(SKIP_1) | instid1(VALU_DEP_2)
	v_add_co_u32 v10, s0, s8, v10
	s_wait_alu 0xf1ff
	v_add_co_ci_u32_e64 v11, s0, s9, v11, s0
	s_add_nc_u64 s[0:1], s[8:9], 0xe060
	global_load_b128 v[13:16], v[10:11], off offset:57440
	ds_store_b128 v25, v[0:3]
	ds_store_b128 v12, v[4:7] offset:53760
	ds_load_b128 v[0:3], v184
	ds_load_b128 v[4:7], v12 offset:51840
	s_wait_dscnt 0x0
	v_add_f64_e64 v[10:11], v[0:1], -v[4:5]
	v_add_f64_e32 v[17:18], v[2:3], v[6:7]
	v_add_f64_e64 v[2:3], v[2:3], -v[6:7]
	v_add_f64_e32 v[0:1], v[0:1], v[4:5]
	s_delay_alu instid0(VALU_DEP_4) | instskip(NEXT) | instid1(VALU_DEP_4)
	v_mul_f64_e32 v[6:7], 0.5, v[10:11]
	v_mul_f64_e32 v[10:11], 0.5, v[17:18]
	s_delay_alu instid0(VALU_DEP_4) | instskip(SKIP_1) | instid1(VALU_DEP_3)
	v_mul_f64_e32 v[2:3], 0.5, v[2:3]
	s_wait_loadcnt 0x1
	v_mul_f64_e32 v[4:5], v[6:7], v[21:22]
	s_delay_alu instid0(VALU_DEP_2) | instskip(SKIP_1) | instid1(VALU_DEP_3)
	v_fma_f64 v[17:18], v[10:11], v[21:22], v[2:3]
	v_fma_f64 v[2:3], v[10:11], v[21:22], -v[2:3]
	v_fma_f64 v[23:24], v[0:1], 0.5, v[4:5]
	v_fma_f64 v[0:1], v[0:1], 0.5, -v[4:5]
	s_delay_alu instid0(VALU_DEP_4) | instskip(NEXT) | instid1(VALU_DEP_4)
	v_fma_f64 v[4:5], -v[19:20], v[6:7], v[17:18]
	v_fma_f64 v[21:22], -v[19:20], v[6:7], v[2:3]
	s_delay_alu instid0(VALU_DEP_4) | instskip(NEXT) | instid1(VALU_DEP_4)
	v_fma_f64 v[2:3], v[10:11], v[19:20], v[23:24]
	v_fma_f64 v[19:20], -v[10:11], v[19:20], v[0:1]
	v_lshlrev_b64_e32 v[0:1], 4, v[8:9]
	s_wait_alu 0xfffe
	s_delay_alu instid0(VALU_DEP_1) | instskip(SKIP_1) | instid1(VALU_DEP_2)
	v_add_co_u32 v0, s0, s0, v0
	s_wait_alu 0xf1ff
	v_add_co_ci_u32_e64 v1, s0, s1, v1, s0
	global_load_b128 v[6:9], v[0:1], off offset:9600
	ds_store_b128 v184, v[2:5]
	ds_store_b128 v12, v[19:22] offset:51840
	ds_load_b128 v[2:5], v186
	ds_load_b128 v[17:20], v12 offset:49920
	s_wait_dscnt 0x0
	v_add_f64_e64 v[10:11], v[2:3], -v[17:18]
	v_add_f64_e32 v[21:22], v[4:5], v[19:20]
	v_add_f64_e64 v[4:5], v[4:5], -v[19:20]
	v_add_f64_e32 v[2:3], v[2:3], v[17:18]
	s_delay_alu instid0(VALU_DEP_4) | instskip(NEXT) | instid1(VALU_DEP_4)
	v_mul_f64_e32 v[10:11], 0.5, v[10:11]
	v_mul_f64_e32 v[19:20], 0.5, v[21:22]
	s_delay_alu instid0(VALU_DEP_4) | instskip(SKIP_1) | instid1(VALU_DEP_3)
	v_mul_f64_e32 v[4:5], 0.5, v[4:5]
	s_wait_loadcnt 0x1
	v_mul_f64_e32 v[17:18], v[10:11], v[15:16]
	s_delay_alu instid0(VALU_DEP_2) | instskip(SKIP_1) | instid1(VALU_DEP_3)
	v_fma_f64 v[21:22], v[19:20], v[15:16], v[4:5]
	v_fma_f64 v[15:16], v[19:20], v[15:16], -v[4:5]
	v_fma_f64 v[23:24], v[2:3], 0.5, v[17:18]
	v_fma_f64 v[17:18], v[2:3], 0.5, -v[17:18]
	s_delay_alu instid0(VALU_DEP_4) | instskip(NEXT) | instid1(VALU_DEP_4)
	v_fma_f64 v[4:5], -v[13:14], v[10:11], v[21:22]
	v_fma_f64 v[15:16], -v[13:14], v[10:11], v[15:16]
	s_delay_alu instid0(VALU_DEP_4) | instskip(NEXT) | instid1(VALU_DEP_4)
	v_fma_f64 v[2:3], v[19:20], v[13:14], v[23:24]
	v_fma_f64 v[13:14], -v[19:20], v[13:14], v[17:18]
	global_load_b128 v[17:20], v[0:1], off offset:11520
	ds_store_b128 v186, v[2:5]
	ds_store_b128 v12, v[13:16] offset:49920
	ds_load_b128 v[2:5], v181 offset:9600
	ds_load_b128 v[13:16], v12 offset:48000
	s_wait_dscnt 0x0
	v_add_f64_e64 v[10:11], v[2:3], -v[13:14]
	v_add_f64_e32 v[21:22], v[4:5], v[15:16]
	v_add_f64_e64 v[4:5], v[4:5], -v[15:16]
	v_add_f64_e32 v[2:3], v[2:3], v[13:14]
	s_delay_alu instid0(VALU_DEP_4) | instskip(NEXT) | instid1(VALU_DEP_4)
	v_mul_f64_e32 v[10:11], 0.5, v[10:11]
	v_mul_f64_e32 v[15:16], 0.5, v[21:22]
	s_delay_alu instid0(VALU_DEP_4) | instskip(SKIP_1) | instid1(VALU_DEP_3)
	v_mul_f64_e32 v[4:5], 0.5, v[4:5]
	s_wait_loadcnt 0x1
	v_mul_f64_e32 v[13:14], v[10:11], v[8:9]
	s_delay_alu instid0(VALU_DEP_2) | instskip(SKIP_1) | instid1(VALU_DEP_3)
	v_fma_f64 v[21:22], v[15:16], v[8:9], v[4:5]
	v_fma_f64 v[8:9], v[15:16], v[8:9], -v[4:5]
	v_fma_f64 v[23:24], v[2:3], 0.5, v[13:14]
	v_fma_f64 v[13:14], v[2:3], 0.5, -v[13:14]
	s_delay_alu instid0(VALU_DEP_4) | instskip(NEXT) | instid1(VALU_DEP_4)
	v_fma_f64 v[4:5], -v[6:7], v[10:11], v[21:22]
	v_fma_f64 v[8:9], -v[6:7], v[10:11], v[8:9]
	s_delay_alu instid0(VALU_DEP_4) | instskip(NEXT) | instid1(VALU_DEP_4)
	v_fma_f64 v[2:3], v[15:16], v[6:7], v[23:24]
	v_fma_f64 v[6:7], -v[15:16], v[6:7], v[13:14]
	global_load_b128 v[13:16], v[0:1], off offset:13440
	ds_store_b128 v181, v[2:5] offset:9600
	ds_store_b128 v12, v[6:9] offset:48000
	ds_load_b128 v[2:5], v181 offset:11520
	ds_load_b128 v[6:9], v12 offset:46080
	s_wait_dscnt 0x0
	v_add_f64_e64 v[10:11], v[2:3], -v[6:7]
	v_add_f64_e32 v[21:22], v[4:5], v[8:9]
	v_add_f64_e64 v[4:5], v[4:5], -v[8:9]
	v_add_f64_e32 v[2:3], v[2:3], v[6:7]
	s_delay_alu instid0(VALU_DEP_4) | instskip(NEXT) | instid1(VALU_DEP_4)
	v_mul_f64_e32 v[8:9], 0.5, v[10:11]
	v_mul_f64_e32 v[10:11], 0.5, v[21:22]
	s_delay_alu instid0(VALU_DEP_4) | instskip(SKIP_1) | instid1(VALU_DEP_3)
	v_mul_f64_e32 v[4:5], 0.5, v[4:5]
	s_wait_loadcnt 0x1
	v_mul_f64_e32 v[6:7], v[8:9], v[19:20]
	s_delay_alu instid0(VALU_DEP_2) | instskip(SKIP_1) | instid1(VALU_DEP_3)
	v_fma_f64 v[21:22], v[10:11], v[19:20], v[4:5]
	v_fma_f64 v[19:20], v[10:11], v[19:20], -v[4:5]
	v_fma_f64 v[23:24], v[2:3], 0.5, v[6:7]
	v_fma_f64 v[6:7], v[2:3], 0.5, -v[6:7]
	s_delay_alu instid0(VALU_DEP_4) | instskip(NEXT) | instid1(VALU_DEP_4)
	v_fma_f64 v[4:5], -v[17:18], v[8:9], v[21:22]
	v_fma_f64 v[8:9], -v[17:18], v[8:9], v[19:20]
	s_delay_alu instid0(VALU_DEP_4) | instskip(NEXT) | instid1(VALU_DEP_4)
	v_fma_f64 v[2:3], v[10:11], v[17:18], v[23:24]
	v_fma_f64 v[6:7], -v[10:11], v[17:18], v[6:7]
	global_load_b128 v[17:20], v[0:1], off offset:15360
	ds_store_b128 v181, v[2:5] offset:11520
	;; [unrolled: 28-line block ×8, first 2 shown]
	ds_store_b128 v12, v[6:9] offset:34560
	ds_load_b128 v[0:3], v181 offset:24960
	ds_load_b128 v[4:7], v12 offset:32640
	s_wait_dscnt 0x0
	v_add_f64_e64 v[8:9], v[0:1], -v[4:5]
	v_add_f64_e32 v[10:11], v[2:3], v[6:7]
	v_add_f64_e64 v[2:3], v[2:3], -v[6:7]
	v_add_f64_e32 v[0:1], v[0:1], v[4:5]
	s_delay_alu instid0(VALU_DEP_4) | instskip(NEXT) | instid1(VALU_DEP_4)
	v_mul_f64_e32 v[6:7], 0.5, v[8:9]
	v_mul_f64_e32 v[8:9], 0.5, v[10:11]
	s_delay_alu instid0(VALU_DEP_4) | instskip(SKIP_1) | instid1(VALU_DEP_3)
	v_mul_f64_e32 v[2:3], 0.5, v[2:3]
	s_wait_loadcnt 0x1
	v_mul_f64_e32 v[4:5], v[6:7], v[15:16]
	s_delay_alu instid0(VALU_DEP_2) | instskip(SKIP_1) | instid1(VALU_DEP_3)
	v_fma_f64 v[10:11], v[8:9], v[15:16], v[2:3]
	v_fma_f64 v[15:16], v[8:9], v[15:16], -v[2:3]
	v_fma_f64 v[21:22], v[0:1], 0.5, v[4:5]
	v_fma_f64 v[4:5], v[0:1], 0.5, -v[4:5]
	s_delay_alu instid0(VALU_DEP_4) | instskip(NEXT) | instid1(VALU_DEP_4)
	v_fma_f64 v[2:3], -v[13:14], v[6:7], v[10:11]
	v_fma_f64 v[6:7], -v[13:14], v[6:7], v[15:16]
	s_delay_alu instid0(VALU_DEP_4) | instskip(NEXT) | instid1(VALU_DEP_4)
	v_fma_f64 v[0:1], v[8:9], v[13:14], v[21:22]
	v_fma_f64 v[4:5], -v[8:9], v[13:14], v[4:5]
	ds_store_b128 v181, v[0:3] offset:24960
	ds_store_b128 v12, v[4:7] offset:32640
	ds_load_b128 v[0:3], v181 offset:26880
	ds_load_b128 v[4:7], v12 offset:30720
	s_wait_dscnt 0x0
	v_add_f64_e64 v[8:9], v[0:1], -v[4:5]
	v_add_f64_e32 v[10:11], v[2:3], v[6:7]
	v_add_f64_e64 v[2:3], v[2:3], -v[6:7]
	v_add_f64_e32 v[0:1], v[0:1], v[4:5]
	s_delay_alu instid0(VALU_DEP_4) | instskip(NEXT) | instid1(VALU_DEP_4)
	v_mul_f64_e32 v[6:7], 0.5, v[8:9]
	v_mul_f64_e32 v[8:9], 0.5, v[10:11]
	s_delay_alu instid0(VALU_DEP_4) | instskip(SKIP_1) | instid1(VALU_DEP_3)
	v_mul_f64_e32 v[2:3], 0.5, v[2:3]
	s_wait_loadcnt 0x0
	v_mul_f64_e32 v[4:5], v[6:7], v[19:20]
	s_delay_alu instid0(VALU_DEP_2) | instskip(SKIP_1) | instid1(VALU_DEP_3)
	v_fma_f64 v[10:11], v[8:9], v[19:20], v[2:3]
	v_fma_f64 v[13:14], v[8:9], v[19:20], -v[2:3]
	v_fma_f64 v[15:16], v[0:1], 0.5, v[4:5]
	v_fma_f64 v[4:5], v[0:1], 0.5, -v[4:5]
	s_delay_alu instid0(VALU_DEP_4) | instskip(NEXT) | instid1(VALU_DEP_4)
	v_fma_f64 v[2:3], -v[17:18], v[6:7], v[10:11]
	v_fma_f64 v[6:7], -v[17:18], v[6:7], v[13:14]
	s_delay_alu instid0(VALU_DEP_4) | instskip(NEXT) | instid1(VALU_DEP_4)
	v_fma_f64 v[0:1], v[8:9], v[17:18], v[15:16]
	v_fma_f64 v[4:5], -v[8:9], v[17:18], v[4:5]
	ds_store_b128 v181, v[0:3] offset:26880
	ds_store_b128 v12, v[4:7] offset:30720
	global_wb scope:SCOPE_SE
	s_wait_dscnt 0x0
	s_barrier_signal -1
	s_barrier_wait -1
	global_inv scope:SCOPE_SE
	s_and_saveexec_b32 s0, vcc_lo
	s_cbranch_execz .LBB0_20
; %bb.18:
	v_mul_lo_u32 v2, s3, v122
	v_mul_lo_u32 v3, s2, v123
	v_mad_co_u64_u32 v[0:1], null, s2, v122, 0
	v_lshl_add_u32 v28, v116, 4, 0
	v_dual_mov_b32 v117, v119 :: v_dual_add_nc_u32 v118, 0x78, v116
	v_lshlrev_b64_e32 v[10:11], 4, v[120:121]
	s_delay_alu instid0(VALU_DEP_4)
	v_add3_u32 v1, v1, v3, v2
	ds_load_b128 v[2:5], v28
	ds_load_b128 v[6:9], v28 offset:1920
	v_lshlrev_b64_e32 v[12:13], 4, v[116:117]
	v_lshlrev_b64_e32 v[14:15], 4, v[118:119]
	v_add_nc_u32_e32 v118, 0xf0, v116
	v_lshlrev_b64_e32 v[0:1], 4, v[0:1]
	s_delay_alu instid0(VALU_DEP_1) | instskip(SKIP_1) | instid1(VALU_DEP_2)
	v_add_co_u32 v0, vcc_lo, s6, v0
	s_wait_alu 0xfffd
	v_add_co_ci_u32_e32 v1, vcc_lo, s7, v1, vcc_lo
	s_delay_alu instid0(VALU_DEP_2) | instskip(SKIP_1) | instid1(VALU_DEP_2)
	v_add_co_u32 v0, vcc_lo, v0, v10
	s_wait_alu 0xfffd
	v_add_co_ci_u32_e32 v1, vcc_lo, v1, v11, vcc_lo
	s_delay_alu instid0(VALU_DEP_2) | instskip(SKIP_1) | instid1(VALU_DEP_2)
	v_add_co_u32 v10, vcc_lo, v0, v12
	s_wait_alu 0xfffd
	v_add_co_ci_u32_e32 v11, vcc_lo, v1, v13, vcc_lo
	v_add_co_u32 v12, vcc_lo, v0, v14
	s_wait_alu 0xfffd
	v_add_co_ci_u32_e32 v13, vcc_lo, v1, v15, vcc_lo
	v_lshlrev_b64_e32 v[14:15], 4, v[118:119]
	v_add_nc_u32_e32 v118, 0x168, v116
	s_wait_dscnt 0x1
	global_store_b128 v[10:11], v[2:5], off
	s_wait_dscnt 0x0
	global_store_b128 v[12:13], v[6:9], off
	ds_load_b128 v[2:5], v28 offset:3840
	ds_load_b128 v[6:9], v28 offset:5760
	v_add_co_u32 v20, vcc_lo, v0, v14
	v_lshlrev_b64_e32 v[18:19], 4, v[118:119]
	v_add_nc_u32_e32 v118, 0x1e0, v116
	s_wait_alu 0xfffd
	v_add_co_ci_u32_e32 v21, vcc_lo, v1, v15, vcc_lo
	ds_load_b128 v[10:13], v28 offset:7680
	ds_load_b128 v[14:17], v28 offset:9600
	v_lshlrev_b64_e32 v[22:23], 4, v[118:119]
	v_add_nc_u32_e32 v118, 0x258, v116
	v_add_co_u32 v18, vcc_lo, v0, v18
	s_wait_alu 0xfffd
	v_add_co_ci_u32_e32 v19, vcc_lo, v1, v19, vcc_lo
	s_delay_alu instid0(VALU_DEP_3) | instskip(SKIP_4) | instid1(VALU_DEP_4)
	v_lshlrev_b64_e32 v[24:25], 4, v[118:119]
	v_add_nc_u32_e32 v118, 0x2d0, v116
	v_add_co_u32 v22, vcc_lo, v0, v22
	s_wait_alu 0xfffd
	v_add_co_ci_u32_e32 v23, vcc_lo, v1, v23, vcc_lo
	v_add_co_u32 v24, vcc_lo, v0, v24
	v_lshlrev_b64_e32 v[26:27], 4, v[118:119]
	v_add_nc_u32_e32 v118, 0x348, v116
	s_wait_alu 0xfffd
	v_add_co_ci_u32_e32 v25, vcc_lo, v1, v25, vcc_lo
	s_wait_dscnt 0x3
	global_store_b128 v[20:21], v[2:5], off
	s_wait_dscnt 0x2
	global_store_b128 v[18:19], v[6:9], off
	s_wait_dscnt 0x1
	global_store_b128 v[22:23], v[10:13], off
	s_wait_dscnt 0x0
	global_store_b128 v[24:25], v[14:17], off
	ds_load_b128 v[2:5], v28 offset:11520
	ds_load_b128 v[6:9], v28 offset:13440
	v_lshlrev_b64_e32 v[18:19], 4, v[118:119]
	v_add_nc_u32_e32 v118, 0x3c0, v116
	ds_load_b128 v[10:13], v28 offset:15360
	ds_load_b128 v[14:17], v28 offset:17280
	v_add_co_u32 v20, vcc_lo, v0, v26
	s_wait_alu 0xfffd
	v_add_co_ci_u32_e32 v21, vcc_lo, v1, v27, vcc_lo
	v_lshlrev_b64_e32 v[22:23], 4, v[118:119]
	v_add_nc_u32_e32 v118, 0x438, v116
	v_add_co_u32 v18, vcc_lo, v0, v18
	s_wait_alu 0xfffd
	v_add_co_ci_u32_e32 v19, vcc_lo, v1, v19, vcc_lo
	s_delay_alu instid0(VALU_DEP_3) | instskip(SKIP_4) | instid1(VALU_DEP_4)
	v_lshlrev_b64_e32 v[24:25], 4, v[118:119]
	v_add_nc_u32_e32 v118, 0x4b0, v116
	v_add_co_u32 v22, vcc_lo, v0, v22
	s_wait_alu 0xfffd
	v_add_co_ci_u32_e32 v23, vcc_lo, v1, v23, vcc_lo
	v_add_co_u32 v24, vcc_lo, v0, v24
	v_lshlrev_b64_e32 v[26:27], 4, v[118:119]
	v_add_nc_u32_e32 v118, 0x528, v116
	s_wait_alu 0xfffd
	v_add_co_ci_u32_e32 v25, vcc_lo, v1, v25, vcc_lo
	s_wait_dscnt 0x3
	global_store_b128 v[20:21], v[2:5], off
	s_wait_dscnt 0x2
	global_store_b128 v[18:19], v[6:9], off
	s_wait_dscnt 0x1
	global_store_b128 v[22:23], v[10:13], off
	s_wait_dscnt 0x0
	global_store_b128 v[24:25], v[14:17], off
	ds_load_b128 v[2:5], v28 offset:19200
	ds_load_b128 v[6:9], v28 offset:21120
	v_lshlrev_b64_e32 v[18:19], 4, v[118:119]
	v_add_nc_u32_e32 v118, 0x5a0, v116
	ds_load_b128 v[10:13], v28 offset:23040
	ds_load_b128 v[14:17], v28 offset:24960
	v_add_co_u32 v20, vcc_lo, v0, v26
	s_wait_alu 0xfffd
	v_add_co_ci_u32_e32 v21, vcc_lo, v1, v27, vcc_lo
	;; [unrolled: 33-line block ×5, first 2 shown]
	v_lshlrev_b64_e32 v[22:23], 4, v[118:119]
	v_add_nc_u32_e32 v118, 0xbb8, v116
	v_add_co_u32 v18, vcc_lo, v0, v18
	s_wait_alu 0xfffd
	v_add_co_ci_u32_e32 v19, vcc_lo, v1, v19, vcc_lo
	s_delay_alu instid0(VALU_DEP_3) | instskip(SKIP_4) | instid1(VALU_DEP_3)
	v_lshlrev_b64_e32 v[24:25], 4, v[118:119]
	v_add_nc_u32_e32 v118, 0xc30, v116
	v_add_co_u32 v22, vcc_lo, v0, v22
	s_wait_alu 0xfffd
	v_add_co_ci_u32_e32 v23, vcc_lo, v1, v23, vcc_lo
	v_lshlrev_b64_e32 v[26:27], 4, v[118:119]
	v_add_nc_u32_e32 v118, 0xca8, v116
	v_add_co_u32 v24, vcc_lo, v0, v24
	s_wait_alu 0xfffd
	v_add_co_ci_u32_e32 v25, vcc_lo, v1, v25, vcc_lo
	s_wait_dscnt 0x3
	global_store_b128 v[20:21], v[2:5], off
	s_wait_dscnt 0x2
	global_store_b128 v[18:19], v[6:9], off
	s_wait_dscnt 0x1
	global_store_b128 v[22:23], v[10:13], off
	s_wait_dscnt 0x0
	global_store_b128 v[24:25], v[14:17], off
	v_lshlrev_b64_e32 v[20:21], 4, v[118:119]
	v_add_nc_u32_e32 v118, 0xd20, v116
	ds_load_b128 v[2:5], v28 offset:49920
	ds_load_b128 v[6:9], v28 offset:51840
	;; [unrolled: 1-line block ×4, first 2 shown]
	v_add_co_u32 v18, vcc_lo, v0, v26
	s_wait_alu 0xfffd
	v_add_co_ci_u32_e32 v19, vcc_lo, v1, v27, vcc_lo
	v_lshlrev_b64_e32 v[22:23], 4, v[118:119]
	v_add_nc_u32_e32 v118, 0xd98, v116
	v_add_co_u32 v20, vcc_lo, v0, v20
	s_wait_alu 0xfffd
	v_add_co_ci_u32_e32 v21, vcc_lo, v1, v21, vcc_lo
	s_delay_alu instid0(VALU_DEP_3) | instskip(SKIP_3) | instid1(VALU_DEP_3)
	v_lshlrev_b64_e32 v[24:25], 4, v[118:119]
	v_add_co_u32 v22, vcc_lo, v0, v22
	s_wait_alu 0xfffd
	v_add_co_ci_u32_e32 v23, vcc_lo, v1, v23, vcc_lo
	v_add_co_u32 v24, vcc_lo, v0, v24
	s_wait_alu 0xfffd
	v_add_co_ci_u32_e32 v25, vcc_lo, v1, v25, vcc_lo
	v_cmp_eq_u32_e32 vcc_lo, 0x77, v116
	s_wait_dscnt 0x3
	global_store_b128 v[18:19], v[2:5], off
	s_wait_dscnt 0x2
	global_store_b128 v[20:21], v[6:9], off
	s_wait_dscnt 0x1
	global_store_b128 v[22:23], v[10:13], off
	s_wait_dscnt 0x0
	global_store_b128 v[24:25], v[14:17], off
	s_and_b32 exec_lo, exec_lo, vcc_lo
	s_cbranch_execz .LBB0_20
; %bb.19:
	v_mov_b32_e32 v2, 0
	ds_load_b128 v[2:5], v2 offset:57600
	s_wait_dscnt 0x0
	global_store_b128 v[0:1], v[2:5], off offset:57600
.LBB0_20:
	s_nop 0
	s_sendmsg sendmsg(MSG_DEALLOC_VGPRS)
	s_endpgm
	.section	.rodata,"a",@progbits
	.p2align	6, 0x0
	.amdhsa_kernel fft_rtc_fwd_len3600_factors_10_10_6_6_wgs_120_tpt_120_halfLds_dp_op_CI_CI_unitstride_sbrr_R2C_dirReg
		.amdhsa_group_segment_fixed_size 0
		.amdhsa_private_segment_fixed_size 0
		.amdhsa_kernarg_size 104
		.amdhsa_user_sgpr_count 2
		.amdhsa_user_sgpr_dispatch_ptr 0
		.amdhsa_user_sgpr_queue_ptr 0
		.amdhsa_user_sgpr_kernarg_segment_ptr 1
		.amdhsa_user_sgpr_dispatch_id 0
		.amdhsa_user_sgpr_private_segment_size 0
		.amdhsa_wavefront_size32 1
		.amdhsa_uses_dynamic_stack 0
		.amdhsa_enable_private_segment 0
		.amdhsa_system_sgpr_workgroup_id_x 1
		.amdhsa_system_sgpr_workgroup_id_y 0
		.amdhsa_system_sgpr_workgroup_id_z 0
		.amdhsa_system_sgpr_workgroup_info 0
		.amdhsa_system_vgpr_workitem_id 0
		.amdhsa_next_free_vgpr 228
		.amdhsa_next_free_sgpr 39
		.amdhsa_reserve_vcc 1
		.amdhsa_float_round_mode_32 0
		.amdhsa_float_round_mode_16_64 0
		.amdhsa_float_denorm_mode_32 3
		.amdhsa_float_denorm_mode_16_64 3
		.amdhsa_fp16_overflow 0
		.amdhsa_workgroup_processor_mode 1
		.amdhsa_memory_ordered 1
		.amdhsa_forward_progress 0
		.amdhsa_round_robin_scheduling 0
		.amdhsa_exception_fp_ieee_invalid_op 0
		.amdhsa_exception_fp_denorm_src 0
		.amdhsa_exception_fp_ieee_div_zero 0
		.amdhsa_exception_fp_ieee_overflow 0
		.amdhsa_exception_fp_ieee_underflow 0
		.amdhsa_exception_fp_ieee_inexact 0
		.amdhsa_exception_int_div_zero 0
	.end_amdhsa_kernel
	.text
.Lfunc_end0:
	.size	fft_rtc_fwd_len3600_factors_10_10_6_6_wgs_120_tpt_120_halfLds_dp_op_CI_CI_unitstride_sbrr_R2C_dirReg, .Lfunc_end0-fft_rtc_fwd_len3600_factors_10_10_6_6_wgs_120_tpt_120_halfLds_dp_op_CI_CI_unitstride_sbrr_R2C_dirReg
                                        ; -- End function
	.section	.AMDGPU.csdata,"",@progbits
; Kernel info:
; codeLenInByte = 22428
; NumSgprs: 41
; NumVgprs: 228
; ScratchSize: 0
; MemoryBound: 0
; FloatMode: 240
; IeeeMode: 1
; LDSByteSize: 0 bytes/workgroup (compile time only)
; SGPRBlocks: 5
; VGPRBlocks: 28
; NumSGPRsForWavesPerEU: 41
; NumVGPRsForWavesPerEU: 228
; Occupancy: 6
; WaveLimiterHint : 1
; COMPUTE_PGM_RSRC2:SCRATCH_EN: 0
; COMPUTE_PGM_RSRC2:USER_SGPR: 2
; COMPUTE_PGM_RSRC2:TRAP_HANDLER: 0
; COMPUTE_PGM_RSRC2:TGID_X_EN: 1
; COMPUTE_PGM_RSRC2:TGID_Y_EN: 0
; COMPUTE_PGM_RSRC2:TGID_Z_EN: 0
; COMPUTE_PGM_RSRC2:TIDIG_COMP_CNT: 0
	.text
	.p2alignl 7, 3214868480
	.fill 96, 4, 3214868480
	.type	__hip_cuid_80c62a4f278b2b6f,@object ; @__hip_cuid_80c62a4f278b2b6f
	.section	.bss,"aw",@nobits
	.globl	__hip_cuid_80c62a4f278b2b6f
__hip_cuid_80c62a4f278b2b6f:
	.byte	0                               ; 0x0
	.size	__hip_cuid_80c62a4f278b2b6f, 1

	.ident	"AMD clang version 19.0.0git (https://github.com/RadeonOpenCompute/llvm-project roc-6.4.0 25133 c7fe45cf4b819c5991fe208aaa96edf142730f1d)"
	.section	".note.GNU-stack","",@progbits
	.addrsig
	.addrsig_sym __hip_cuid_80c62a4f278b2b6f
	.amdgpu_metadata
---
amdhsa.kernels:
  - .args:
      - .actual_access:  read_only
        .address_space:  global
        .offset:         0
        .size:           8
        .value_kind:     global_buffer
      - .offset:         8
        .size:           8
        .value_kind:     by_value
      - .actual_access:  read_only
        .address_space:  global
        .offset:         16
        .size:           8
        .value_kind:     global_buffer
      - .actual_access:  read_only
        .address_space:  global
        .offset:         24
        .size:           8
        .value_kind:     global_buffer
      - .actual_access:  read_only
        .address_space:  global
        .offset:         32
        .size:           8
        .value_kind:     global_buffer
      - .offset:         40
        .size:           8
        .value_kind:     by_value
      - .actual_access:  read_only
        .address_space:  global
        .offset:         48
        .size:           8
        .value_kind:     global_buffer
      - .actual_access:  read_only
        .address_space:  global
        .offset:         56
        .size:           8
        .value_kind:     global_buffer
      - .offset:         64
        .size:           4
        .value_kind:     by_value
      - .actual_access:  read_only
        .address_space:  global
        .offset:         72
        .size:           8
        .value_kind:     global_buffer
      - .actual_access:  read_only
        .address_space:  global
        .offset:         80
        .size:           8
        .value_kind:     global_buffer
      - .actual_access:  read_only
        .address_space:  global
        .offset:         88
        .size:           8
        .value_kind:     global_buffer
      - .actual_access:  write_only
        .address_space:  global
        .offset:         96
        .size:           8
        .value_kind:     global_buffer
    .group_segment_fixed_size: 0
    .kernarg_segment_align: 8
    .kernarg_segment_size: 104
    .language:       OpenCL C
    .language_version:
      - 2
      - 0
    .max_flat_workgroup_size: 120
    .name:           fft_rtc_fwd_len3600_factors_10_10_6_6_wgs_120_tpt_120_halfLds_dp_op_CI_CI_unitstride_sbrr_R2C_dirReg
    .private_segment_fixed_size: 0
    .sgpr_count:     41
    .sgpr_spill_count: 0
    .symbol:         fft_rtc_fwd_len3600_factors_10_10_6_6_wgs_120_tpt_120_halfLds_dp_op_CI_CI_unitstride_sbrr_R2C_dirReg.kd
    .uniform_work_group_size: 1
    .uses_dynamic_stack: false
    .vgpr_count:     228
    .vgpr_spill_count: 0
    .wavefront_size: 32
    .workgroup_processor_mode: 1
amdhsa.target:   amdgcn-amd-amdhsa--gfx1201
amdhsa.version:
  - 1
  - 2
...

	.end_amdgpu_metadata
